;; amdgpu-corpus repo=ROCm/rocFFT kind=compiled arch=gfx1030 opt=O3
	.text
	.amdgcn_target "amdgcn-amd-amdhsa--gfx1030"
	.amdhsa_code_object_version 6
	.protected	bluestein_single_back_len1755_dim1_half_op_CI_CI ; -- Begin function bluestein_single_back_len1755_dim1_half_op_CI_CI
	.globl	bluestein_single_back_len1755_dim1_half_op_CI_CI
	.p2align	8
	.type	bluestein_single_back_len1755_dim1_half_op_CI_CI,@function
bluestein_single_back_len1755_dim1_half_op_CI_CI: ; @bluestein_single_back_len1755_dim1_half_op_CI_CI
; %bb.0:
	s_load_dwordx4 s[12:15], s[4:5], 0x28
	v_mul_u32_u24_e32 v1, 0x231, v0
	v_mov_b32_e32 v21, 0
	s_mov_b32 s0, exec_lo
	v_lshrrev_b32_e32 v1, 16, v1
	v_add_nc_u32_e32 v20, s6, v1
	s_waitcnt lgkmcnt(0)
	v_cmpx_gt_u64_e64 s[12:13], v[20:21]
	s_cbranch_execz .LBB0_15
; %bb.1:
	s_clause 0x1
	s_load_dwordx4 s[8:11], s[4:5], 0x18
	s_load_dwordx2 s[6:7], s[4:5], 0x0
	v_mul_lo_u16 v1, 0x75, v1
	v_sub_nc_u16 v7, v0, v1
	v_and_b32_e32 v85, 0xffff, v7
	v_lshlrev_b32_e32 v73, 2, v85
	s_waitcnt lgkmcnt(0)
	s_load_dwordx4 s[0:3], s[8:9], 0x0
	s_clause 0x3
	global_load_dword v87, v73, s[6:7]
	global_load_dword v86, v73, s[6:7] offset:540
	global_load_dword v84, v73, s[6:7] offset:1080
	;; [unrolled: 1-line block ×3, first 2 shown]
	s_waitcnt lgkmcnt(0)
	v_mad_u64_u32 v[0:1], null, s2, v20, 0
	v_mad_u64_u32 v[2:3], null, s0, v85, 0
	v_add_co_u32 v18, s2, s6, v73
	v_add_co_ci_u32_e64 v19, null, s7, 0, s2
	s_mul_hi_u32 s6, s0, 0x87
	s_mul_i32 s2, s0, 0x87
	v_mad_u64_u32 v[4:5], null, s3, v20, v[1:2]
	s_mul_i32 s3, s1, 0x87
	s_add_i32 s3, s6, s3
	s_load_dwordx2 s[6:7], s[4:5], 0x38
	s_lshl_b64 s[2:3], s[2:3], 2
	v_mad_u64_u32 v[5:6], null, s1, v85, v[3:4]
	v_mov_b32_e32 v1, v4
	v_add_nc_u32_e32 v4, 0xc00, v73
	v_lshlrev_b64 v[0:1], 2, v[0:1]
	v_mov_b32_e32 v3, v5
	v_add_co_u32 v0, vcc_lo, s14, v0
	v_lshlrev_b64 v[2:3], 2, v[2:3]
	v_add_co_ci_u32_e32 v1, vcc_lo, s15, v1, vcc_lo
	v_add_co_u32 v0, vcc_lo, v0, v2
	v_add_co_ci_u32_e32 v1, vcc_lo, v1, v3, vcc_lo
	v_add_co_u32 v16, vcc_lo, 0x800, v18
	v_add_co_ci_u32_e32 v17, vcc_lo, 0, v19, vcc_lo
	global_load_dword v5, v[0:1], off
	v_add_co_u32 v0, vcc_lo, v0, s2
	v_add_co_ci_u32_e32 v1, vcc_lo, s3, v1, vcc_lo
	s_clause 0x1
	global_load_dword v82, v[16:17], off offset:112
	global_load_dword v81, v[16:17], off offset:652
	v_add_co_u32 v2, vcc_lo, v0, s2
	v_add_co_ci_u32_e32 v3, vcc_lo, s3, v1, vcc_lo
	s_clause 0x1
	global_load_dword v6, v[0:1], off
	global_load_dword v8, v[2:3], off
	v_add_co_u32 v0, vcc_lo, v2, s2
	v_add_co_ci_u32_e32 v1, vcc_lo, s3, v3, vcc_lo
	v_add_co_u32 v2, vcc_lo, v0, s2
	v_add_co_ci_u32_e32 v3, vcc_lo, s3, v1, vcc_lo
	s_clause 0x1
	global_load_dword v9, v[0:1], off
	global_load_dword v10, v[2:3], off
	v_add_co_u32 v0, vcc_lo, v2, s2
	v_add_co_ci_u32_e32 v1, vcc_lo, s3, v3, vcc_lo
	v_add_co_u32 v2, vcc_lo, v0, s2
	v_add_co_ci_u32_e32 v3, vcc_lo, s3, v1, vcc_lo
	global_load_dword v11, v[0:1], off
	v_add_co_u32 v0, vcc_lo, v2, s2
	v_add_co_ci_u32_e32 v1, vcc_lo, s3, v3, vcc_lo
	v_add_co_u32 v14, vcc_lo, 0x1000, v18
	v_add_co_ci_u32_e32 v15, vcc_lo, 0, v19, vcc_lo
	global_load_dword v80, v[16:17], off offset:1192
	global_load_dword v21, v[2:3], off
	global_load_dword v22, v[0:1], off
	v_add_co_u32 v0, vcc_lo, v0, s2
	v_add_co_ci_u32_e32 v1, vcc_lo, s3, v1, vcc_lo
	s_clause 0x3
	global_load_dword v79, v[16:17], off offset:1732
	global_load_dword v78, v[14:15], off offset:224
	;; [unrolled: 1-line block ×4, first 2 shown]
	v_add_co_u32 v2, vcc_lo, v0, s2
	v_add_co_ci_u32_e32 v3, vcc_lo, s3, v1, vcc_lo
	global_load_dword v23, v[0:1], off
	v_add_co_u32 v0, vcc_lo, v2, s2
	v_add_co_ci_u32_e32 v1, vcc_lo, s3, v3, vcc_lo
	global_load_dword v24, v[2:3], off
	;; [unrolled: 3-line block ×3, first 2 shown]
	v_add_co_u32 v0, vcc_lo, v2, s2
	v_add_co_ci_u32_e32 v1, vcc_lo, s3, v3, vcc_lo
	v_add_co_u32 v12, vcc_lo, 0x1800, v18
	v_add_co_ci_u32_e32 v13, vcc_lo, 0, v19, vcc_lo
	global_load_dword v26, v[2:3], off
	global_load_dword v27, v[0:1], off
	s_clause 0x1
	global_load_dword v75, v[14:15], off offset:1844
	global_load_dword v74, v[12:13], off offset:336
	v_add_nc_u32_e32 v2, 0x400, v73
	v_add_nc_u32_e32 v3, 0x800, v73
	s_load_dwordx4 s[8:11], s[10:11], 0x0
	v_cmp_gt_u16_e32 vcc_lo, 18, v7
	s_waitcnt vmcnt(21)
	v_lshrrev_b32_e32 v28, 16, v5
	v_mul_f16_sdwa v29, v87, v5 dst_sel:DWORD dst_unused:UNUSED_PAD src0_sel:WORD_1 src1_sel:DWORD
	v_mul_f16_sdwa v30, v87, v28 dst_sel:DWORD dst_unused:UNUSED_PAD src0_sel:WORD_1 src1_sel:DWORD
	v_fma_f16 v28, v87, v28, -v29
	s_waitcnt vmcnt(18)
	v_lshrrev_b32_e32 v31, 16, v6
	v_mul_f16_sdwa v32, v86, v6 dst_sel:DWORD dst_unused:UNUSED_PAD src0_sel:WORD_1 src1_sel:DWORD
	v_fmac_f16_e32 v30, v87, v5
	s_waitcnt vmcnt(17)
	v_lshrrev_b32_e32 v29, 16, v8
	v_mul_f16_sdwa v5, v86, v31 dst_sel:DWORD dst_unused:UNUSED_PAD src0_sel:WORD_1 src1_sel:DWORD
	v_fma_f16 v31, v86, v31, -v32
	v_mul_f16_sdwa v32, v84, v8 dst_sel:DWORD dst_unused:UNUSED_PAD src0_sel:WORD_1 src1_sel:DWORD
	v_pack_b32_f16 v28, v30, v28
	v_fmac_f16_e32 v5, v86, v6
	v_mul_f16_sdwa v6, v84, v29 dst_sel:DWORD dst_unused:UNUSED_PAD src0_sel:WORD_1 src1_sel:DWORD
	v_fma_f16 v29, v84, v29, -v32
	s_waitcnt vmcnt(16)
	v_lshrrev_b32_e32 v30, 16, v9
	v_mul_f16_sdwa v33, v83, v9 dst_sel:DWORD dst_unused:UNUSED_PAD src0_sel:WORD_1 src1_sel:DWORD
	v_pack_b32_f16 v5, v5, v31
	v_fmac_f16_e32 v6, v84, v8
	s_waitcnt vmcnt(15)
	v_lshrrev_b32_e32 v31, 16, v10
	v_mul_f16_sdwa v8, v83, v30 dst_sel:DWORD dst_unused:UNUSED_PAD src0_sel:WORD_1 src1_sel:DWORD
	v_fma_f16 v30, v83, v30, -v33
	v_mul_f16_sdwa v32, v82, v10 dst_sel:DWORD dst_unused:UNUSED_PAD src0_sel:WORD_1 src1_sel:DWORD
	ds_write2_b32 v73, v28, v5 offset1:135
	v_pack_b32_f16 v5, v6, v29
	v_fmac_f16_e32 v8, v83, v9
	v_mul_f16_sdwa v6, v82, v31 dst_sel:DWORD dst_unused:UNUSED_PAD src0_sel:WORD_1 src1_sel:DWORD
	v_fma_f16 v29, v82, v31, -v32
	s_waitcnt vmcnt(14)
	v_lshrrev_b32_e32 v9, 16, v11
	v_mul_f16_sdwa v28, v81, v11 dst_sel:DWORD dst_unused:UNUSED_PAD src0_sel:WORD_1 src1_sel:DWORD
	v_pack_b32_f16 v8, v8, v30
	v_fmac_f16_e32 v6, v82, v10
	v_mul_f16_sdwa v10, v81, v9 dst_sel:DWORD dst_unused:UNUSED_PAD src0_sel:WORD_1 src1_sel:DWORD
	v_fma_f16 v9, v81, v9, -v28
	ds_write2_b32 v2, v5, v8 offset0:14 offset1:149
	s_waitcnt vmcnt(12)
	v_lshrrev_b32_e32 v28, 16, v21
	v_mul_f16_sdwa v30, v80, v21 dst_sel:DWORD dst_unused:UNUSED_PAD src0_sel:WORD_1 src1_sel:DWORD
	v_pack_b32_f16 v5, v6, v29
	v_fmac_f16_e32 v10, v81, v11
	s_waitcnt vmcnt(11)
	v_lshrrev_b32_e32 v8, 16, v22
	v_mul_f16_sdwa v6, v80, v28 dst_sel:DWORD dst_unused:UNUSED_PAD src0_sel:WORD_1 src1_sel:DWORD
	s_waitcnt vmcnt(10)
	v_mul_f16_sdwa v11, v79, v22 dst_sel:DWORD dst_unused:UNUSED_PAD src0_sel:WORD_1 src1_sel:DWORD
	v_fma_f16 v28, v80, v28, -v30
	v_pack_b32_f16 v9, v10, v9
	v_mul_f16_sdwa v10, v79, v8 dst_sel:DWORD dst_unused:UNUSED_PAD src0_sel:WORD_1 src1_sel:DWORD
	v_fmac_f16_e32 v6, v80, v21
	v_fma_f16 v8, v79, v8, -v11
	s_waitcnt vmcnt(6)
	v_lshrrev_b32_e32 v11, 16, v23
	v_mul_f16_sdwa v21, v78, v23 dst_sel:DWORD dst_unused:UNUSED_PAD src0_sel:WORD_1 src1_sel:DWORD
	ds_write2_b32 v3, v5, v9 offset0:28 offset1:163
	v_pack_b32_f16 v9, v6, v28
	v_fmac_f16_e32 v10, v79, v22
	v_mul_f16_sdwa v5, v78, v11 dst_sel:DWORD dst_unused:UNUSED_PAD src0_sel:WORD_1 src1_sel:DWORD
	s_waitcnt vmcnt(5)
	v_lshrrev_b32_e32 v6, 16, v24
	v_fma_f16 v11, v78, v11, -v21
	v_mul_f16_sdwa v21, v77, v24 dst_sel:DWORD dst_unused:UNUSED_PAD src0_sel:WORD_1 src1_sel:DWORD
	v_pack_b32_f16 v8, v10, v8
	v_fmac_f16_e32 v5, v78, v23
	v_mul_f16_sdwa v10, v77, v6 dst_sel:DWORD dst_unused:UNUSED_PAD src0_sel:WORD_1 src1_sel:DWORD
	s_waitcnt vmcnt(4)
	v_lshrrev_b32_e32 v22, 16, v25
	v_fma_f16 v6, v77, v6, -v21
	v_mul_f16_sdwa v21, v76, v25 dst_sel:DWORD dst_unused:UNUSED_PAD src0_sel:WORD_1 src1_sel:DWORD
	v_pack_b32_f16 v11, v5, v11
	v_fmac_f16_e32 v10, v77, v24
	s_waitcnt vmcnt(3)
	v_lshrrev_b32_e32 v5, 16, v26
	s_waitcnt vmcnt(2)
	v_lshrrev_b32_e32 v24, 16, v27
	v_mul_f16_sdwa v23, v76, v22 dst_sel:DWORD dst_unused:UNUSED_PAD src0_sel:WORD_1 src1_sel:DWORD
	v_fma_f16 v21, v76, v22, -v21
	s_waitcnt vmcnt(1)
	v_mul_f16_sdwa v22, v75, v26 dst_sel:DWORD dst_unused:UNUSED_PAD src0_sel:WORD_1 src1_sel:DWORD
	v_pack_b32_f16 v10, v10, v6
	v_mul_f16_sdwa v6, v75, v5 dst_sel:DWORD dst_unused:UNUSED_PAD src0_sel:WORD_1 src1_sel:DWORD
	s_waitcnt vmcnt(0)
	v_mul_f16_sdwa v28, v74, v24 dst_sel:DWORD dst_unused:UNUSED_PAD src0_sel:WORD_1 src1_sel:DWORD
	v_mul_f16_sdwa v29, v74, v27 dst_sel:DWORD dst_unused:UNUSED_PAD src0_sel:WORD_1 src1_sel:DWORD
	v_fma_f16 v22, v75, v5, -v22
	v_fmac_f16_e32 v23, v76, v25
	v_fmac_f16_e32 v6, v75, v26
	;; [unrolled: 1-line block ×3, first 2 shown]
	v_fma_f16 v24, v74, v24, -v29
	v_add_nc_u32_e32 v5, 0x1000, v73
	v_pack_b32_f16 v21, v23, v21
	v_pack_b32_f16 v22, v6, v22
	v_add_nc_u32_e32 v6, 0x1400, v73
	v_pack_b32_f16 v23, v28, v24
	ds_write2_b32 v4, v9, v8 offset0:42 offset1:177
	ds_write2_b32 v5, v11, v10 offset0:56 offset1:191
	ds_write2_b32 v6, v21, v22 offset0:70 offset1:205
	ds_write_b32 v73, v23 offset:6480
	s_and_saveexec_b32 s12, vcc_lo
	s_cbranch_execz .LBB0_3
; %bb.2:
	v_mad_u64_u32 v[0:1], null, 0xffffe884, s0, v[0:1]
	s_mulk_i32 s1, 0xe884
	v_add_nc_u32_e32 v41, 0x600, v73
	s_sub_i32 s0, s1, s0
	v_add_nc_u32_e32 v42, 0xa00, v73
	v_add_nc_u32_e32 v46, 0xe00, v73
	;; [unrolled: 1-line block ×3, first 2 shown]
	s_clause 0x2
	global_load_dword v9, v[18:19], off offset:468
	global_load_dword v10, v[18:19], off offset:1008
	;; [unrolled: 1-line block ×3, first 2 shown]
	global_load_dword v21, v[0:1], off
	v_add_co_u32 v0, s0, v0, s2
	v_add_co_ci_u32_e64 v1, s0, s3, v1, s0
	global_load_dword v22, v[16:17], off offset:40
	v_add_co_u32 v7, s0, v0, s2
	v_add_co_ci_u32_e64 v8, s0, s3, v1, s0
	global_load_dword v23, v[0:1], off
	v_add_co_u32 v0, s0, v7, s2
	v_add_co_ci_u32_e64 v1, s0, s3, v8, s0
	global_load_dword v24, v[7:8], off
	;; [unrolled: 3-line block ×4, first 2 shown]
	v_add_co_u32 v7, s0, v0, s2
	v_add_co_ci_u32_e64 v8, s0, s3, v1, s0
	s_clause 0x1
	global_load_dword v27, v[16:17], off offset:580
	global_load_dword v28, v[16:17], off offset:1120
	global_load_dword v29, v[0:1], off
	global_load_dword v30, v[7:8], off
	v_add_co_u32 v0, s0, v7, s2
	v_add_co_ci_u32_e64 v1, s0, s3, v8, s0
	s_clause 0x3
	global_load_dword v31, v[16:17], off offset:1660
	global_load_dword v32, v[14:15], off offset:152
	;; [unrolled: 1-line block ×4, first 2 shown]
	v_add_co_u32 v7, s0, v0, s2
	v_add_co_ci_u32_e64 v8, s0, s3, v1, s0
	global_load_dword v35, v[0:1], off
	v_add_co_u32 v0, s0, v7, s2
	v_add_co_ci_u32_e64 v1, s0, s3, v8, s0
	global_load_dword v36, v[7:8], off
	;; [unrolled: 3-line block ×4, first 2 shown]
	v_add_co_u32 v7, s0, v0, s2
	v_add_co_ci_u32_e64 v8, s0, s3, v1, s0
	global_load_dword v39, v[14:15], off offset:1772
	global_load_dword v0, v[0:1], off
	global_load_dword v1, v[7:8], off
	s_clause 0x1
	global_load_dword v7, v[12:13], off offset:264
	global_load_dword v8, v[12:13], off offset:804
	s_waitcnt vmcnt(22)
	v_lshrrev_b32_e32 v40, 16, v21
	v_mul_f16_sdwa v43, v9, v21 dst_sel:DWORD dst_unused:UNUSED_PAD src0_sel:WORD_1 src1_sel:DWORD
	v_mul_f16_sdwa v44, v9, v40 dst_sel:DWORD dst_unused:UNUSED_PAD src0_sel:WORD_1 src1_sel:DWORD
	v_fma_f16 v40, v9, v40, -v43
	s_waitcnt vmcnt(20)
	v_lshrrev_b32_e32 v45, 16, v23
	v_mul_f16_sdwa v47, v10, v23 dst_sel:DWORD dst_unused:UNUSED_PAD src0_sel:WORD_1 src1_sel:DWORD
	v_fmac_f16_e32 v44, v9, v21
	v_mul_f16_sdwa v9, v10, v45 dst_sel:DWORD dst_unused:UNUSED_PAD src0_sel:WORD_1 src1_sel:DWORD
	s_waitcnt vmcnt(19)
	v_lshrrev_b32_e32 v21, 16, v24
	v_fma_f16 v43, v10, v45, -v47
	v_mul_f16_sdwa v45, v11, v24 dst_sel:DWORD dst_unused:UNUSED_PAD src0_sel:WORD_1 src1_sel:DWORD
	v_pack_b32_f16 v40, v44, v40
	v_fmac_f16_e32 v9, v10, v23
	v_mul_f16_sdwa v10, v11, v21 dst_sel:DWORD dst_unused:UNUSED_PAD src0_sel:WORD_1 src1_sel:DWORD
	s_waitcnt vmcnt(18)
	v_lshrrev_b32_e32 v23, 16, v25
	v_mul_f16_sdwa v44, v22, v25 dst_sel:DWORD dst_unused:UNUSED_PAD src0_sel:WORD_1 src1_sel:DWORD
	v_fma_f16 v21, v11, v21, -v45
	v_pack_b32_f16 v9, v9, v43
	v_fmac_f16_e32 v10, v11, v24
	v_mul_f16_sdwa v11, v22, v23 dst_sel:DWORD dst_unused:UNUSED_PAD src0_sel:WORD_1 src1_sel:DWORD
	v_fma_f16 v23, v22, v23, -v44
	s_waitcnt vmcnt(17)
	v_lshrrev_b32_e32 v24, 16, v26
	ds_write2_b32 v73, v40, v9 offset0:117 offset1:252
	v_pack_b32_f16 v9, v10, v21
	v_fmac_f16_e32 v11, v22, v25
	s_waitcnt vmcnt(14)
	v_lshrrev_b32_e32 v21, 16, v29
	v_mul_f16_sdwa v43, v27, v26 dst_sel:DWORD dst_unused:UNUSED_PAD src0_sel:WORD_1 src1_sel:DWORD
	v_mul_f16_sdwa v10, v27, v24 dst_sel:DWORD dst_unused:UNUSED_PAD src0_sel:WORD_1 src1_sel:DWORD
	;; [unrolled: 1-line block ×3, first 2 shown]
	v_pack_b32_f16 v11, v11, v23
	v_mul_f16_sdwa v23, v28, v21 dst_sel:DWORD dst_unused:UNUSED_PAD src0_sel:WORD_1 src1_sel:DWORD
	v_fma_f16 v24, v27, v24, -v43
	v_fmac_f16_e32 v10, v27, v26
	v_fma_f16 v21, v28, v21, -v22
	s_waitcnt vmcnt(13)
	v_lshrrev_b32_e32 v22, 16, v30
	ds_write2_b32 v41, v9, v11 offset0:3 offset1:138
	v_fmac_f16_e32 v23, v28, v29
	s_waitcnt vmcnt(8)
	v_lshrrev_b32_e32 v11, 16, v35
	v_mul_f16_sdwa v25, v31, v30 dst_sel:DWORD dst_unused:UNUSED_PAD src0_sel:WORD_1 src1_sel:DWORD
	v_pack_b32_f16 v9, v10, v24
	v_mul_f16_sdwa v10, v31, v22 dst_sel:DWORD dst_unused:UNUSED_PAD src0_sel:WORD_1 src1_sel:DWORD
	v_mul_f16_sdwa v24, v32, v35 dst_sel:DWORD dst_unused:UNUSED_PAD src0_sel:WORD_1 src1_sel:DWORD
	v_pack_b32_f16 v21, v23, v21
	v_mul_f16_sdwa v23, v32, v11 dst_sel:DWORD dst_unused:UNUSED_PAD src0_sel:WORD_1 src1_sel:DWORD
	v_fma_f16 v22, v31, v22, -v25
	v_fmac_f16_e32 v10, v31, v30
	s_waitcnt vmcnt(7)
	v_lshrrev_b32_e32 v25, 16, v36
	v_fma_f16 v11, v32, v11, -v24
	v_mul_f16_sdwa v24, v33, v36 dst_sel:DWORD dst_unused:UNUSED_PAD src0_sel:WORD_1 src1_sel:DWORD
	v_fmac_f16_e32 v23, v32, v35
	s_waitcnt vmcnt(6)
	v_lshrrev_b32_e32 v26, 16, v37
	v_pack_b32_f16 v10, v10, v22
	v_mul_f16_sdwa v22, v33, v25 dst_sel:DWORD dst_unused:UNUSED_PAD src0_sel:WORD_1 src1_sel:DWORD
	v_fma_f16 v24, v33, v25, -v24
	v_mul_f16_sdwa v25, v34, v37 dst_sel:DWORD dst_unused:UNUSED_PAD src0_sel:WORD_1 src1_sel:DWORD
	v_pack_b32_f16 v11, v23, v11
	v_mul_f16_sdwa v23, v34, v26 dst_sel:DWORD dst_unused:UNUSED_PAD src0_sel:WORD_1 src1_sel:DWORD
	v_fmac_f16_e32 v22, v33, v36
	s_waitcnt vmcnt(5)
	v_lshrrev_b32_e32 v27, 16, v38
	v_fma_f16 v25, v34, v26, -v25
	s_waitcnt vmcnt(4)
	v_mul_f16_sdwa v26, v39, v38 dst_sel:DWORD dst_unused:UNUSED_PAD src0_sel:WORD_1 src1_sel:DWORD
	v_fmac_f16_e32 v23, v34, v37
	s_waitcnt vmcnt(3)
	v_lshrrev_b32_e32 v28, 16, v0
	s_waitcnt vmcnt(2)
	v_lshrrev_b32_e32 v29, 16, v1
	v_pack_b32_f16 v22, v22, v24
	v_mul_f16_sdwa v24, v39, v27 dst_sel:DWORD dst_unused:UNUSED_PAD src0_sel:WORD_1 src1_sel:DWORD
	v_fma_f16 v26, v39, v27, -v26
	s_waitcnt vmcnt(1)
	v_mul_f16_sdwa v27, v7, v0 dst_sel:DWORD dst_unused:UNUSED_PAD src0_sel:WORD_1 src1_sel:DWORD
	v_pack_b32_f16 v23, v23, v25
	v_mul_f16_sdwa v25, v7, v28 dst_sel:DWORD dst_unused:UNUSED_PAD src0_sel:WORD_1 src1_sel:DWORD
	s_waitcnt vmcnt(0)
	v_mul_f16_sdwa v30, v8, v29 dst_sel:DWORD dst_unused:UNUSED_PAD src0_sel:WORD_1 src1_sel:DWORD
	v_mul_f16_sdwa v31, v8, v1 dst_sel:DWORD dst_unused:UNUSED_PAD src0_sel:WORD_1 src1_sel:DWORD
	v_fmac_f16_e32 v24, v39, v38
	v_fma_f16 v27, v7, v28, -v27
	v_fmac_f16_e32 v25, v7, v0
	v_fmac_f16_e32 v30, v8, v1
	v_fma_f16 v0, v8, v29, -v31
	v_add_nc_u32_e32 v1, 0x1200, v73
	v_pack_b32_f16 v7, v24, v26
	v_pack_b32_f16 v8, v25, v27
	v_add_nc_u32_e32 v24, 0x1600, v73
	v_pack_b32_f16 v0, v30, v0
	ds_write2_b32 v42, v9, v21 offset0:17 offset1:152
	ds_write2_b32 v46, v10, v11 offset0:31 offset1:166
	;; [unrolled: 1-line block ×4, first 2 shown]
	ds_write_b32 v73, v0 offset:6948
.LBB0_3:
	s_or_b32 exec_lo, exec_lo, s12
	s_waitcnt lgkmcnt(0)
	s_barrier
	buffer_gl0_inv
	ds_read2_b32 v[29:30], v73 offset1:135
	ds_read2_b32 v[35:36], v2 offset0:14 offset1:149
	ds_read2_b32 v[37:38], v3 offset0:28 offset1:163
	;; [unrolled: 1-line block ×5, first 2 shown]
	ds_read_b32 v60, v73 offset:6480
	s_load_dwordx2 s[0:1], s[4:5], 0x8
	v_mov_b32_e32 v0, 0
                                        ; implicit-def: $vgpr7
                                        ; implicit-def: $vgpr4
                                        ; implicit-def: $vgpr9
                                        ; implicit-def: $vgpr2
                                        ; implicit-def: $vgpr11
                                        ; implicit-def: $vgpr41
	s_and_saveexec_b32 s2, vcc_lo
	s_cbranch_execz .LBB0_5
; %bb.4:
	v_add_nc_u32_e32 v2, 0x600, v73
	v_add_nc_u32_e32 v3, 0xa00, v73
	v_add_nc_u32_e32 v4, 0xe00, v73
	v_add_nc_u32_e32 v5, 0x1200, v73
	v_add_nc_u32_e32 v21, 0x1600, v73
	ds_read2_b32 v[0:1], v73 offset0:117 offset1:252
	ds_read2_b32 v[10:11], v2 offset0:3 offset1:138
	;; [unrolled: 1-line block ×6, first 2 shown]
	ds_read_b32 v41, v73 offset:6948
.LBB0_5:
	s_or_b32 exec_lo, exec_lo, s2
	s_waitcnt lgkmcnt(0)
	v_pk_add_f16 v52, v1, v41 neg_lo:[0,1] neg_hi:[0,1]
	v_mov_b32_e32 v56, 0xba95
	v_mov_b32_e32 v50, 0xbbf1
	v_pk_add_f16 v42, v41, v1
	v_mov_b32_e32 v48, 0xbb7b
	v_pk_add_f16 v54, v10, v3 neg_lo:[0,1] neg_hi:[0,1]
	v_mul_f16_sdwa v21, v52, v56 dst_sel:DWORD dst_unused:UNUSED_PAD src0_sel:WORD_1 src1_sel:DWORD
	v_mul_f16_sdwa v22, v52, v50 dst_sel:DWORD dst_unused:UNUSED_PAD src0_sel:WORD_1 src1_sel:DWORD
	v_mov_b32_e32 v46, 0xb3a8
	v_pk_add_f16 v43, v3, v10
	v_mul_f16_sdwa v26, v54, v48 dst_sel:DWORD dst_unused:UNUSED_PAD src0_sel:WORD_1 src1_sel:DWORD
	v_fma_f16 v23, v42, 0x388b, -v21
	v_fmac_f16_e32 v21, 0x388b, v42
	v_fma_f16 v24, v42, 0x2fb7, -v22
	v_fmac_f16_e32 v22, 0x2fb7, v42
	v_mul_f16_sdwa v28, v54, v46 dst_sel:DWORD dst_unused:UNUSED_PAD src0_sel:WORD_1 src1_sel:DWORD
	v_pk_add_f16 v55, v11, v2 neg_lo:[0,1] neg_hi:[0,1]
	v_mov_b32_e32 v63, 0x3b7b
	v_fma_f16 v49, v43, 0xb5ac, -v26
	v_fmac_f16_e32 v26, 0xb5ac, v43
	v_fma_f16 v51, v43, 0xbbc4, -v28
	v_pk_add_f16 v44, v2, v11
	v_mul_f16_sdwa v58, v55, v46 dst_sel:DWORD dst_unused:UNUSED_PAD src0_sel:WORD_1 src1_sel:DWORD
	v_fmac_f16_e32 v28, 0xbbc4, v43
	v_mov_b32_e32 v64, 0x394e
	v_mul_f16_sdwa v62, v55, v63 dst_sel:DWORD dst_unused:UNUSED_PAD src0_sel:WORD_1 src1_sel:DWORD
	v_pk_add_f16 v53, v8, v5 neg_lo:[0,1] neg_hi:[0,1]
	v_mov_b32_e32 v65, 0x3770
	v_add_f16_e32 v21, v21, v0
	v_add_f16_e32 v22, v22, v0
	v_fma_f16 v66, v44, 0xbbc4, -v58
	v_fmac_f16_e32 v58, 0xbbc4, v44
	v_fma_f16 v67, v44, 0xb5ac, -v62
	v_pk_add_f16 v45, v5, v8
	v_add_f16_e32 v23, v23, v0
	v_mul_f16_sdwa v68, v53, v64 dst_sel:DWORD dst_unused:UNUSED_PAD src0_sel:WORD_1 src1_sel:DWORD
	v_fmac_f16_e32 v62, 0xb5ac, v44
	v_add_f16_e32 v24, v24, v0
	v_add_f16_e32 v21, v26, v21
	v_pk_add_f16 v59, v9, v4 neg_lo:[0,1] neg_hi:[0,1]
	v_mul_f16_sdwa v26, v53, v65 dst_sel:DWORD dst_unused:UNUSED_PAD src0_sel:WORD_1 src1_sel:DWORD
	v_add_f16_e32 v22, v28, v22
	v_mul_f16_sdwa v25, v52, v48 dst_sel:DWORD dst_unused:UNUSED_PAD src0_sel:WORD_1 src1_sel:DWORD
	v_mov_b32_e32 v47, 0xb94e
	v_add_f16_e32 v23, v49, v23
	v_fma_f16 v69, v45, 0xb9fd, -v68
	v_fmac_f16_e32 v68, 0xb9fd, v45
	v_add_f16_e32 v24, v51, v24
	v_pk_add_f16 v49, v4, v9
	v_add_f16_e32 v21, v58, v21
	v_fma_f16 v51, v45, 0x3b15, -v26
	v_fmac_f16_e32 v26, 0x3b15, v45
	v_add_f16_e32 v22, v62, v22
	v_mul_f16_sdwa v62, v59, v56 dst_sel:DWORD dst_unused:UNUSED_PAD src0_sel:WORD_1 src1_sel:DWORD
	v_fma_f16 v27, v42, 0xb5ac, -v25
	v_mul_f16_sdwa v57, v52, v47 dst_sel:DWORD dst_unused:UNUSED_PAD src0_sel:WORD_1 src1_sel:DWORD
	v_mov_b32_e32 v61, 0x3bf1
	v_add_f16_e32 v23, v66, v23
	v_add_f16_e32 v24, v67, v24
	;; [unrolled: 1-line block ×3, first 2 shown]
	v_fma_f16 v67, v49, 0x388b, -v62
	v_add_f16_e32 v22, v26, v22
	v_fmac_f16_e32 v62, 0x388b, v49
	v_mul_f16_sdwa v68, v54, v64 dst_sel:DWORD dst_unused:UNUSED_PAD src0_sel:WORD_1 src1_sel:DWORD
	v_mul_f16_sdwa v28, v59, v61 dst_sel:DWORD dst_unused:UNUSED_PAD src0_sel:WORD_1 src1_sel:DWORD
	v_add_f16_e32 v23, v69, v23
	v_pk_add_f16 v58, v6, v7 neg_lo:[0,1] neg_hi:[0,1]
	v_add_f16_e32 v62, v62, v22
	v_mul_f16_sdwa v69, v54, v61 dst_sel:DWORD dst_unused:UNUSED_PAD src0_sel:WORD_1 src1_sel:DWORD
	v_fma_f16 v22, v42, 0xb9fd, -v57
	v_fma_f16 v70, v43, 0xb9fd, -v68
	v_add_f16_e32 v27, v27, v0
	v_fma_f16 v66, v49, 0x2fb7, -v28
	v_fmac_f16_e32 v28, 0x2fb7, v49
	v_add_f16_e32 v24, v51, v24
	v_pk_add_f16 v51, v7, v6
	v_mul_f16_sdwa v26, v58, v65 dst_sel:DWORD dst_unused:UNUSED_PAD src0_sel:WORD_1 src1_sel:DWORD
	v_fma_f16 v71, v43, 0x2fb7, -v69
	v_add_f16_e32 v22, v22, v0
	v_mul_f16_sdwa v72, v55, v65 dst_sel:DWORD dst_unused:UNUSED_PAD src0_sel:WORD_1 src1_sel:DWORD
	v_mul_f16_sdwa v88, v55, v56 dst_sel:DWORD dst_unused:UNUSED_PAD src0_sel:WORD_1 src1_sel:DWORD
	v_add_f16_e32 v27, v70, v27
	v_mov_b32_e32 v70, 0x33a8
	v_add_f16_e32 v23, v66, v23
	v_mul_f16_sdwa v66, v58, v47 dst_sel:DWORD dst_unused:UNUSED_PAD src0_sel:WORD_1 src1_sel:DWORD
	v_add_f16_e32 v21, v28, v21
	v_fma_f16 v28, v51, 0x3b15, -v26
	v_add_f16_e32 v22, v71, v22
	v_fma_f16 v71, v44, 0x3b15, -v72
	v_fma_f16 v89, v44, 0x388b, -v88
	v_mul_f16_sdwa v90, v53, v50 dst_sel:DWORD dst_unused:UNUSED_PAD src0_sel:WORD_1 src1_sel:DWORD
	v_mul_f16_sdwa v91, v53, v70 dst_sel:DWORD dst_unused:UNUSED_PAD src0_sel:WORD_1 src1_sel:DWORD
	v_add_f16_e32 v24, v67, v24
	v_fma_f16 v67, v51, 0xb9fd, -v66
	v_add_f16_e32 v23, v28, v23
	v_add_f16_e32 v27, v71, v27
	;; [unrolled: 1-line block ×3, first 2 shown]
	v_fma_f16 v28, v45, 0x2fb7, -v90
	v_fma_f16 v71, v45, 0xbbc4, -v91
	v_mul_f16_sdwa v89, v59, v70 dst_sel:DWORD dst_unused:UNUSED_PAD src0_sel:WORD_1 src1_sel:DWORD
	v_mul_f16_sdwa v92, v59, v65 dst_sel:DWORD dst_unused:UNUSED_PAD src0_sel:WORD_1 src1_sel:DWORD
	v_fmac_f16_e32 v26, 0x3b15, v51
	v_add_f16_e32 v24, v67, v24
	v_add_f16_e32 v27, v28, v27
	;; [unrolled: 1-line block ×3, first 2 shown]
	v_fma_f16 v67, v49, 0xbbc4, -v89
	v_fma_f16 v93, v49, 0x3b15, -v92
	v_add_f16_e32 v22, v26, v21
	v_fmac_f16_e32 v66, 0xb9fd, v51
	v_mov_b32_e32 v71, 0x3a95
	v_add_f16_e32 v26, v67, v27
	v_add_f16_e32 v27, v93, v28
	v_pk_add_f16 v28, v29, v30
	v_fmac_f16_e32 v25, 0xb5ac, v42
	v_add_f16_e32 v21, v66, v62
	v_mul_f16_sdwa v62, v58, v71 dst_sel:DWORD dst_unused:UNUSED_PAD src0_sel:WORD_1 src1_sel:DWORD
	v_fmac_f16_e32 v68, 0xb9fd, v43
	v_pk_add_f16 v28, v28, v35
	v_fmac_f16_e32 v57, 0xb9fd, v42
	v_add_f16_e32 v25, v25, v0
	v_fma_f16 v66, v51, 0x388b, -v62
	v_fmac_f16_e32 v69, 0x2fb7, v43
	v_pk_add_f16 v28, v28, v36
	v_add_f16_e32 v57, v57, v0
	v_add_f16_e32 v67, v68, v25
	v_fmac_f16_e32 v72, 0x3b15, v44
	v_add_f16_e32 v25, v66, v26
	v_pk_add_f16 v28, v28, v37
	v_add_f16_e32 v26, v69, v57
	v_fmac_f16_e32 v90, 0x2fb7, v45
	v_add_f16_e32 v57, v72, v67
	v_fmac_f16_e32 v89, 0xbbc4, v49
	v_pk_add_f16 v28, v28, v38
	v_fmac_f16_e32 v62, 0x388b, v51
	v_pk_add_f16 v96, v60, v30
	v_add_f16_e32 v57, v90, v57
	v_mov_b32_e32 v72, 0xb770
	v_pk_add_f16 v28, v28, v33
	v_pk_add_f16 v97, v30, v60 neg_lo:[0,1] neg_hi:[0,1]
	v_pk_add_f16 v94, v37, v40 neg_lo:[0,1] neg_hi:[0,1]
	v_add_f16_e32 v57, v89, v57
	v_pk_add_f16 v95, v38, v39 neg_lo:[0,1] neg_hi:[0,1]
	v_pk_add_f16 v68, v28, v34
	v_pk_add_f16 v98, v35, v32 neg_lo:[0,1] neg_hi:[0,1]
	v_mul_f16_sdwa v100, v97, v72 dst_sel:DWORD dst_unused:UNUSED_PAD src0_sel:WORD_1 src1_sel:DWORD
	v_add_f16_e32 v28, v62, v57
	v_pk_add_f16 v62, v40, v37
	v_pk_add_f16 v57, v68, v39
	;; [unrolled: 1-line block ×4, first 2 shown]
	v_pk_mul_f16 v35, 0x3b15388b, v96
	v_fmac_f16_e32 v88, 0x388b, v44
	v_pk_add_f16 v39, v57, v40
	v_mul_f16_sdwa v93, v58, v48 dst_sel:DWORD dst_unused:UNUSED_PAD src0_sel:WORD_1 src1_sel:DWORD
	v_pk_add_f16 v30, v31, v36
	v_pk_add_f16 v99, v36, v31 neg_lo:[0,1] neg_hi:[0,1]
	v_pk_mul_f16 v36, 0x388bb5ac, v38
	v_pk_add_f16 v57, v39, v31
	v_pk_fma_f16 v101, 0xba95b770, v97, v35 op_sel:[0,0,1] op_sel_hi:[1,1,0] neg_lo:[0,1,0] neg_hi:[0,1,0]
	v_pk_fma_f16 v102, 0xba95b770, v97, v35 op_sel:[0,0,1] op_sel_hi:[1,1,0]
	v_fma_f16 v39, v96, 0x3b15, -v100
	v_mul_f16_sdwa v35, v98, v56 dst_sel:DWORD dst_unused:UNUSED_PAD src0_sel:WORD_1 src1_sel:DWORD
	v_add_f16_e32 v26, v88, v26
	v_fmac_f16_e32 v91, 0xbbc4, v45
	v_fma_f16 v66, v51, 0xb5ac, -v93
	v_pk_fma_f16 v31, 0xbb7bba95, v98, v36 op_sel:[0,0,1] op_sel_hi:[1,1,0] neg_lo:[0,1,0] neg_hi:[0,1,0]
	v_pk_fma_f16 v89, 0xbb7bba95, v98, v36 op_sel:[0,0,1] op_sel_hi:[1,1,0]
	v_bfi_b32 v36, 0xffff, v102, v101
	v_add_f16_e32 v39, v29, v39
	v_fma_f16 v40, v38, 0x388b, -v35
	v_add_f16_e32 v67, v91, v26
	v_fmac_f16_e32 v92, 0x3b15, v49
	v_add_f16_e32 v26, v66, v27
	v_lshrrev_b32_e32 v103, 16, v96
	v_mul_f16_e32 v104, 0xba95, v97
	v_pk_add_f16 v36, v29, v36 op_sel:[1,0] op_sel_hi:[0,1]
	v_bfi_b32 v66, 0xffff, v89, v31
	v_add_f16_e32 v68, v40, v39
	v_pk_mul_f16 v39, 0x2fb7bbc4, v30
	v_add_f16_e32 v27, v92, v67
	v_fmamk_f16 v67, v103, 0x388b, v104
	v_lshrrev_b32_e32 v90, 16, v38
	v_mul_f16_e32 v92, 0xbb7b, v98
	v_pk_add_f16 v69, v66, v36
	v_pk_fma_f16 v36, 0xb3a8bbf1, v99, v39 op_sel:[0,0,1] op_sel_hi:[1,1,0] neg_lo:[0,1,0] neg_hi:[0,1,0]
	v_pk_fma_f16 v91, 0xb3a8bbf1, v99, v39 op_sel:[0,0,1] op_sel_hi:[1,1,0]
	v_pk_mul_f16 v88, 0xb5acb9fd, v62
	v_add_f16_sdwa v66, v29, v67 dst_sel:DWORD dst_unused:UNUSED_PAD src0_sel:WORD_1 src1_sel:DWORD
	v_fmamk_f16 v67, v90, 0xb5ac, v92
	v_mul_f16_sdwa v40, v99, v50 dst_sel:DWORD dst_unused:UNUSED_PAD src0_sel:WORD_1 src1_sel:DWORD
	v_lshrrev_b32_e32 v105, 16, v30
	v_mul_f16_e32 v106, 0xb3a8, v99
	v_bfi_b32 v108, 0xffff, v91, v36
	v_pk_fma_f16 v39, 0x394ebb7b, v94, v88 op_sel:[0,0,1] op_sel_hi:[1,1,0] neg_lo:[0,1,0] neg_hi:[0,1,0]
	v_pk_fma_f16 v110, 0x394ebb7b, v94, v88 op_sel:[0,0,1] op_sel_hi:[1,1,0]
	v_add_f16_e32 v67, v67, v66
	v_fma_f16 v107, v30, 0x2fb7, -v40
	v_fmamk_f16 v109, v105, 0xbbc4, v106
	v_mul_f16_sdwa v66, v94, v48 dst_sel:DWORD dst_unused:UNUSED_PAD src0_sel:WORD_1 src1_sel:DWORD
	v_pk_add_f16 v69, v108, v69
	v_bfi_b32 v108, 0xffff, v110, v39
	v_add_f16_e32 v88, v107, v68
	v_add_f16_e32 v107, v109, v67
	v_fma_f16 v67, v62, 0xb5ac, -v66
	v_lshrrev_b32_e32 v109, 16, v62
	v_mul_f16_e32 v111, 0x394e, v94
	v_mul_f16_sdwa v68, v95, v47 dst_sel:DWORD dst_unused:UNUSED_PAD src0_sel:WORD_1 src1_sel:DWORD
	v_pk_mul_f16 v112, 0xb9fd2fb7, v37
	v_pk_add_f16 v108, v108, v69
	v_pk_add_f16 v69, v34, v33
	v_add_f16_e32 v88, v67, v88
	v_fmamk_f16 v113, v109, 0xb9fd, v111
	v_fma_f16 v114, v37, 0xb9fd, -v68
	v_pk_fma_f16 v67, 0x3bf1b94e, v95, v112 op_sel:[0,0,1] op_sel_hi:[1,1,0] neg_lo:[0,1,0] neg_hi:[0,1,0]
	v_pk_fma_f16 v112, 0x3bf1b94e, v95, v112 op_sel:[0,0,1] op_sel_hi:[1,1,0]
	v_lshrrev_b32_e32 v115, 16, v37
	v_mul_f16_e32 v116, 0x3bf1, v95
	v_pk_add_f16 v117, v33, v34 neg_lo:[0,1] neg_hi:[0,1]
	v_pk_mul_f16 v118, 0xbbc43b15, v69
	v_add_f16_e32 v107, v113, v107
	v_add_f16_e32 v88, v114, v88
	v_bfi_b32 v113, 0xffff, v112, v67
	v_fmamk_f16 v114, v115, 0x2fb7, v116
	v_pk_fma_f16 v33, 0x3770b3a8, v117, v118 op_sel:[0,0,1] op_sel_hi:[1,1,0] neg_lo:[0,1,0] neg_hi:[0,1,0]
	v_pk_fma_f16 v119, 0x3770b3a8, v117, v118 op_sel:[0,0,1] op_sel_hi:[1,1,0]
	v_lshrrev_b32_e32 v120, 16, v69
	v_mul_f16_e32 v121, 0x3770, v117
	v_mul_f16_sdwa v34, v117, v46 dst_sel:DWORD dst_unused:UNUSED_PAD src0_sel:WORD_1 src1_sel:DWORD
	v_fmac_f16_e32 v93, 0xb5ac, v51
	v_pk_add_f16 v108, v113, v108
	v_add_f16_e32 v107, v114, v107
	v_bfi_b32 v113, 0xffff, v119, v33
	v_fmamk_f16 v114, v120, 0x3b15, v121
	v_fma_f16 v119, v69, 0xbbc4, -v34
	v_add_f16_e32 v27, v93, v27
	v_pk_add_f16 v32, v57, v32
	v_pk_add_f16 v93, v113, v108
	v_add_f16_e32 v107, v114, v107
	v_add_f16_e32 v88, v119, v88
	v_mul_lo_u16 v108, v85, 13
	v_mul_f16_sdwa v113, v97, v50 dst_sel:DWORD dst_unused:UNUSED_PAD src0_sel:WORD_1 src1_sel:DWORD
	v_mov_b32_e32 v57, 2
	v_mul_f16_e32 v114, 0xbbf1, v97
	v_alignbit_b32 v107, v107, v93, 16
	v_pack_b32_f16 v93, v88, v93
	v_fma_f16 v119, v96, 0x2fb7, -v113
	v_lshlrev_b32_sdwa v88, v57, v108 dst_sel:DWORD dst_unused:UNUSED_PAD src0_sel:DWORD src1_sel:WORD_0
	v_mul_f16_sdwa v108, v98, v46 dst_sel:DWORD dst_unused:UNUSED_PAD src0_sel:WORD_1 src1_sel:DWORD
	v_fmamk_f16 v122, v103, 0x2fb7, v114
	v_mul_f16_e32 v123, 0xb3a8, v98
	v_mul_f16_sdwa v124, v97, v48 dst_sel:DWORD dst_unused:UNUSED_PAD src0_sel:WORD_1 src1_sel:DWORD
	v_add_f16_e32 v119, v29, v119
	v_fma_f16 v125, v38, 0xbbc4, -v108
	v_add_f16_sdwa v122, v29, v122 dst_sel:DWORD dst_unused:UNUSED_PAD src0_sel:WORD_1 src1_sel:DWORD
	v_fmamk_f16 v126, v90, 0xbbc4, v123
	v_mul_f16_e32 v127, 0xbb7b, v97
	v_fma_f16 v128, v96, 0xb5ac, -v124
	v_add_f16_e32 v119, v125, v119
	v_mul_f16_sdwa v64, v98, v64 dst_sel:DWORD dst_unused:UNUSED_PAD src0_sel:WORD_1 src1_sel:DWORD
	v_add_f16_e32 v122, v126, v122
	v_fmamk_f16 v125, v103, 0xb5ac, v127
	v_add_f16_e32 v126, v29, v128
	v_mul_f16_e32 v128, 0x394e, v98
	v_fma_f16 v129, v38, 0xb9fd, -v64
	v_mul_f16_sdwa v63, v99, v63 dst_sel:DWORD dst_unused:UNUSED_PAD src0_sel:WORD_1 src1_sel:DWORD
	v_add_f16_sdwa v125, v29, v125 dst_sel:DWORD dst_unused:UNUSED_PAD src0_sel:WORD_1 src1_sel:DWORD
	v_mul_f16_e32 v130, 0x3b7b, v99
	v_fmamk_f16 v131, v90, 0xb9fd, v128
	v_mul_f16_sdwa v132, v99, v65 dst_sel:DWORD dst_unused:UNUSED_PAD src0_sel:WORD_1 src1_sel:DWORD
	v_fma_f16 v133, v30, 0xb5ac, -v63
	v_add_f16_e32 v126, v129, v126
	v_fmamk_f16 v129, v105, 0xb5ac, v130
	v_add_f16_e32 v125, v131, v125
	v_fma_f16 v131, v30, 0x3b15, -v132
	v_add_f16_e32 v119, v133, v119
	v_mul_f16_e32 v133, 0x3770, v99
	v_add_f16_e32 v122, v129, v122
	v_mul_f16_sdwa v129, v94, v65 dst_sel:DWORD dst_unused:UNUSED_PAD src0_sel:WORD_1 src1_sel:DWORD
	v_add_f16_e32 v126, v131, v126
	v_mul_f16_e32 v131, 0x3770, v94
	v_fmamk_f16 v134, v105, 0x3b15, v133
	v_mul_f16_sdwa v135, v94, v50 dst_sel:DWORD dst_unused:UNUSED_PAD src0_sel:WORD_1 src1_sel:DWORD
	v_fma_f16 v136, v62, 0x3b15, -v129
	v_mul_f16_e32 v137, 0xbbf1, v94
	v_fmamk_f16 v138, v109, 0x3b15, v131
	v_add_f16_e32 v125, v134, v125
	v_fma_f16 v134, v62, 0x2fb7, -v135
	v_add_f16_e32 v119, v136, v119
	v_fmamk_f16 v136, v109, 0x2fb7, v137
	v_add_f16_e32 v122, v138, v122
	v_mul_f16_sdwa v138, v95, v56 dst_sel:DWORD dst_unused:UNUSED_PAD src0_sel:WORD_1 src1_sel:DWORD
	v_add_f16_e32 v126, v134, v126
	v_mul_f16_e32 v134, 0xba95, v95
	v_add_f16_e32 v125, v136, v125
	v_mul_f16_sdwa v136, v95, v70 dst_sel:DWORD dst_unused:UNUSED_PAD src0_sel:WORD_1 src1_sel:DWORD
	v_fma_f16 v139, v37, 0x388b, -v138
	v_mul_f16_e32 v140, 0x33a8, v95
	v_fmamk_f16 v141, v115, 0x388b, v134
	v_mul_f16_sdwa v142, v117, v47 dst_sel:DWORD dst_unused:UNUSED_PAD src0_sel:WORD_1 src1_sel:DWORD
	v_fma_f16 v143, v37, 0xbbc4, -v136
	v_add_f16_e32 v119, v139, v119
	v_fmamk_f16 v139, v115, 0xbbc4, v140
	v_add_f16_e32 v122, v141, v122
	v_fma_f16 v141, v69, 0xb9fd, -v142
	v_add_f16_e32 v126, v143, v126
	v_mul_f16_sdwa v143, v97, v47 dst_sel:DWORD dst_unused:UNUSED_PAD src0_sel:WORD_1 src1_sel:DWORD
	v_add_f16_e32 v125, v139, v125
	v_mul_f16_e32 v139, 0xb94e, v97
	v_add_f16_e32 v119, v141, v119
	v_mul_f16_sdwa v61, v98, v61 dst_sel:DWORD dst_unused:UNUSED_PAD src0_sel:WORD_1 src1_sel:DWORD
	v_fma_f16 v141, v96, 0xb9fd, -v143
	v_mul_f16_e32 v145, 0x3bf1, v98
	v_fmamk_f16 v144, v103, 0xb9fd, v139
	v_mul_f16_sdwa v149, v99, v56 dst_sel:DWORD dst_unused:UNUSED_PAD src0_sel:WORD_1 src1_sel:DWORD
	v_fma_f16 v147, v38, 0x2fb7, -v61
	v_add_f16_e32 v141, v29, v141
	v_fmamk_f16 v148, v90, 0x2fb7, v145
	v_add_f16_sdwa v144, v29, v144 dst_sel:DWORD dst_unused:UNUSED_PAD src0_sel:WORD_1 src1_sel:DWORD
	v_mul_f16_e32 v150, 0xba95, v99
	v_mul_f16_sdwa v70, v94, v70 dst_sel:DWORD dst_unused:UNUSED_PAD src0_sel:WORD_1 src1_sel:DWORD
	v_add_f16_e32 v141, v147, v141
	v_fma_f16 v147, v30, 0x388b, -v149
	v_add_f16_e32 v144, v148, v144
	v_fmamk_f16 v148, v105, 0x388b, v150
	v_mul_f16_e32 v152, 0x33a8, v94
	v_mul_f16_sdwa v65, v95, v65 dst_sel:DWORD dst_unused:UNUSED_PAD src0_sel:WORD_1 src1_sel:DWORD
	v_add_f16_e32 v141, v147, v141
	v_fma_f16 v147, v62, 0xbbc4, -v70
	v_add_f16_e32 v144, v148, v144
	v_fmamk_f16 v148, v109, 0xbbc4, v152
	v_mul_f16_e32 v154, 0x3770, v95
	v_mul_f16_sdwa v71, v117, v71 dst_sel:DWORD dst_unused:UNUSED_PAD src0_sel:WORD_1 src1_sel:DWORD
	v_mul_f16_e32 v151, 0x3a95, v117
	v_mul_f16_e32 v155, 0xb9fd, v120
	v_add_f16_e32 v141, v147, v141
	v_add_f16_e32 v144, v148, v144
	v_fma_f16 v147, v37, 0x3b15, -v65
	v_fmamk_f16 v148, v115, 0x3b15, v154
	v_mul_f16_sdwa v156, v117, v48 dst_sel:DWORD dst_unused:UNUSED_PAD src0_sel:WORD_1 src1_sel:DWORD
	v_mul_f16_e32 v157, 0xbb7b, v117
	v_fma_f16 v146, v69, 0x388b, -v71
	v_fmamk_f16 v153, v120, 0x388b, v151
	v_fmamk_f16 v158, v117, 0xb94e, v155
	v_add_f16_e32 v141, v147, v141
	v_add_f16_e32 v144, v148, v144
	v_fma_f16 v147, v69, 0xb5ac, -v156
	v_fmamk_f16 v148, v120, 0xb5ac, v157
	v_add_f16_e32 v126, v146, v126
	v_add_f16_e32 v125, v153, v125
	;; [unrolled: 1-line block ×5, first 2 shown]
	v_pk_add_f16 v32, v32, v60
	v_pack_b32_f16 v125, v126, v125
	v_pack_b32_f16 v119, v119, v122
	;; [unrolled: 1-line block ×3, first 2 shown]
	s_barrier
	buffer_gl0_inv
	ds_write2_b32 v88, v93, v107 offset0:1 offset1:2
	ds_write2_b32 v88, v119, v125 offset0:3 offset1:4
	ds_write2_b32 v88, v32, v60 offset1:5
	v_fma_f16 v32, v103, 0x388b, -v104
	v_pk_mul_f16 v104, 0xbbc4, v96 op_sel_hi:[0,1]
	v_fmac_f16_e32 v100, 0x3b15, v96
	v_fmac_f16_e32 v113, 0x2fb7, v96
	;; [unrolled: 1-line block ×4, first 2 shown]
	v_pk_fma_f16 v96, 0xb3a8, v97, v104 op_sel:[0,0,1] op_sel_hi:[0,1,0] neg_lo:[0,1,0] neg_hi:[0,1,0]
	v_pk_fma_f16 v97, 0xb3a8, v97, v104 op_sel:[0,0,1] op_sel_hi:[0,1,0]
	v_pk_mul_f16 v104, 0x3b15, v38 op_sel_hi:[0,1]
	v_fma_f16 v60, v103, 0x2fb7, -v114
	v_pk_mul_f16 v119, 0xb9fd, v30 op_sel_hi:[0,1]
	v_pk_add_f16 v96, v29, v96 op_sel:[1,0] op_sel_hi:[0,1]
	v_pk_add_f16 v97, v29, v97 op_sel:[1,0] op_sel_hi:[0,1]
	v_pk_fma_f16 v114, 0x3770, v98, v104 op_sel:[0,0,1] op_sel_hi:[0,1,0] neg_lo:[0,1,0] neg_hi:[0,1,0]
	v_pk_fma_f16 v98, 0x3770, v98, v104 op_sel:[0,0,1] op_sel_hi:[0,1,0]
	v_pk_fma_f16 v104, 0xb94e, v99, v119 op_sel:[0,0,1] op_sel_hi:[0,1,0] neg_lo:[0,1,0] neg_hi:[0,1,0]
	v_fma_f16 v93, v103, 0xb5ac, -v127
	v_fma_f16 v103, v103, 0xb9fd, -v139
	v_pk_add_f16 v96, v114, v96
	v_pk_mul_f16 v114, 0x388b, v62 op_sel_hi:[0,1]
	v_pk_add_f16 v97, v98, v97
	v_pk_fma_f16 v98, 0xb94e, v99, v119 op_sel:[0,0,1] op_sel_hi:[0,1,0]
	v_add_f16_e32 v100, v29, v100
	v_pk_add_f16 v96, v104, v96
	v_pk_fma_f16 v99, 0x3a95, v94, v114 op_sel:[0,0,1] op_sel_hi:[0,1,0] neg_lo:[0,1,0] neg_hi:[0,1,0]
	v_pk_mul_f16 v104, 0xb5ac, v37 op_sel_hi:[0,1]
	v_pk_add_f16 v97, v98, v97
	v_pk_fma_f16 v94, 0x3a95, v94, v114 op_sel:[0,0,1] op_sel_hi:[0,1,0]
	v_pk_add_f16 v102, v29, v102 op_sel:[1,0] op_sel_hi:[0,1]
	v_pk_add_f16 v96, v99, v96
	v_pk_fma_f16 v98, 0xbb7b, v95, v104 op_sel:[0,0,1] op_sel_hi:[0,1,0] neg_lo:[0,1,0] neg_hi:[0,1,0]
	v_pk_mul_f16 v99, 0x2fb7, v69 op_sel_hi:[0,1]
	v_add_f16_sdwa v32, v29, v32 dst_sel:DWORD dst_unused:UNUSED_PAD src0_sel:WORD_1 src1_sel:DWORD
	v_add_f16_e32 v107, v29, v113
	v_add_f16_sdwa v60, v29, v60 dst_sel:DWORD dst_unused:UNUSED_PAD src0_sel:WORD_1 src1_sel:DWORD
	v_add_f16_e32 v113, v29, v124
	;; [unrolled: 2-line block ×3, first 2 shown]
	v_add_f16_sdwa v103, v29, v103 dst_sel:DWORD dst_unused:UNUSED_PAD src0_sel:WORD_1 src1_sel:DWORD
	v_add_f16_sdwa v101, v29, v101 dst_sel:DWORD dst_unused:UNUSED_PAD src0_sel:WORD_1 src1_sel:DWORD
	v_pk_add_f16 v29, v94, v97
	v_pk_fma_f16 v94, 0xbb7b, v95, v104 op_sel:[0,0,1] op_sel_hi:[0,1,0]
	v_pk_add_f16 v95, v98, v96
	v_pk_fma_f16 v96, 0x3bf1, v117, v99 op_sel:[0,0,1] op_sel_hi:[0,1,0] neg_lo:[0,1,0] neg_hi:[0,1,0]
	v_fmac_f16_e32 v64, 0xb9fd, v38
	v_fma_f16 v97, v90, 0xb9fd, -v128
	v_fmac_f16_e32 v61, 0x2fb7, v38
	v_pk_add_f16 v29, v94, v29
	v_pk_add_f16 v94, v96, v95
	v_add_f16_e32 v64, v64, v113
	v_add_f16_e32 v93, v97, v93
	;; [unrolled: 1-line block ×3, first 2 shown]
	v_fma_f16 v95, v90, 0x2fb7, -v145
	v_fmac_f16_e32 v132, 0x3b15, v30
	v_fma_f16 v96, v105, 0x3b15, -v133
	v_fmac_f16_e32 v149, 0x388b, v30
	v_fmac_f16_e32 v135, 0x2fb7, v62
	v_add_f16_e32 v95, v95, v103
	v_add_f16_e32 v64, v132, v64
	v_add_f16_e32 v93, v96, v93
	v_add_f16_e32 v61, v149, v61
	v_fma_f16 v96, v105, 0x388b, -v150
	v_fmac_f16_e32 v70, 0xbbc4, v62
	v_pk_fma_f16 v97, 0x3bf1, v117, v99 op_sel:[0,0,1] op_sel_hi:[0,1,0]
	v_fma_f16 v98, v109, 0x2fb7, -v137
	v_add_f16_e32 v64, v135, v64
	v_add_f16_e32 v95, v96, v95
	;; [unrolled: 1-line block ×3, first 2 shown]
	v_fma_f16 v70, v109, 0xbbc4, -v152
	v_fmac_f16_e32 v136, 0xbbc4, v37
	v_fmac_f16_e32 v65, 0x3b15, v37
	v_pk_add_f16 v29, v97, v29
	v_add_f16_e32 v93, v98, v93
	v_fma_f16 v96, v115, 0xbbc4, -v140
	v_add_f16_e32 v70, v70, v95
	v_add_f16_e32 v64, v136, v64
	;; [unrolled: 1-line block ×3, first 2 shown]
	v_fma_f16 v65, v115, 0x3b15, -v154
	v_fmac_f16_e32 v71, 0x388b, v69
	v_alignbit_b32 v97, v94, v29, 16
	v_add_f16_e32 v93, v96, v93
	v_alignbit_b32 v96, v29, v94, 16
	v_add_f16_e32 v29, v65, v70
	v_add_f16_e32 v64, v71, v64
	v_fma_f16 v70, v90, 0xb5ac, -v92
	v_fma_f16 v71, v90, 0xbbc4, -v123
	v_pk_add_f16 v89, v89, v102
	v_fmac_f16_e32 v108, 0xbbc4, v38
	v_fmac_f16_e32 v63, 0xb5ac, v30
	v_add_f16_e32 v32, v70, v32
	v_add_f16_e32 v60, v71, v60
	v_fma_f16 v70, v105, 0xbbc4, -v106
	v_fma_f16 v71, v105, 0xb5ac, -v130
	v_pk_add_f16 v89, v91, v89
	v_mul_f16_e32 v91, 0xb94e, v117
	v_add_f16_e32 v92, v108, v107
	v_add_f16_e32 v32, v70, v32
	;; [unrolled: 1-line block ×3, first 2 shown]
	v_fma_f16 v70, v109, 0xb9fd, -v111
	v_fma_f16 v71, v109, 0x3b15, -v131
	v_pk_add_f16 v89, v110, v89
	v_add_f16_e32 v63, v63, v92
	v_fma_f16 v92, v115, 0x2fb7, -v116
	v_add_f16_e32 v32, v70, v32
	v_add_f16_e32 v60, v71, v60
	v_fma_f16 v70, v115, 0x388b, -v134
	v_pk_mul_f16 v71, 0x3770b3a8, v117
	v_bfi_b32 v91, 0xffff, v91, v89
	v_pk_add_f16 v89, v112, v89
	v_fma_f16 v95, v120, 0x388b, -v151
	v_pack_b32_f16 v70, v70, v118
	v_bfi_b32 v60, 0xffff, v60, v71
	v_pk_add_f16 v71, v155, v91 neg_lo:[0,1] neg_hi:[0,1]
	v_fmac_f16_e32 v156, 0xb5ac, v69
	v_fma_f16 v90, v120, 0xb5ac, -v157
	v_fmac_f16_e32 v129, 0x3b15, v62
	v_add_f16_e32 v32, v92, v32
	v_fma_f16 v91, v120, 0x3b15, -v121
	v_pk_add_f16 v60, v70, v60
	v_bfi_b32 v70, 0xffff, v71, v89
	v_add_f16_e32 v65, v95, v93
	v_add_f16_e32 v61, v156, v61
	;; [unrolled: 1-line block ×3, first 2 shown]
	v_fmac_f16_e32 v138, 0x388b, v37
	v_add_f16_e32 v29, v90, v29
	v_add_f16_e32 v32, v91, v32
	v_pk_add_f16 v60, v70, v60
	v_fmac_f16_e32 v142, 0xb9fd, v69
	v_add_f16_e32 v63, v138, v63
	v_pack_b32_f16 v64, v64, v65
	v_lshrrev_b32_e32 v65, 16, v42
	v_pack_b32_f16 v61, v61, v29
	v_alignbit_b32 v71, v32, v60, 16
	v_mul_f16_e32 v32, 0xbbf1, v52
	v_mul_f16_sdwa v29, v52, v72 dst_sel:DWORD dst_unused:UNUSED_PAD src0_sel:WORD_1 src1_sel:DWORD
	v_add_f16_e32 v63, v142, v63
	v_mul_f16_e32 v70, 0xba95, v52
	v_mul_f16_e32 v89, 0xbb7b, v52
	v_fmamk_f16 v90, v65, 0x2fb7, v32
	v_fma_f16 v72, v65, 0x2fb7, -v32
	v_fmamk_f16 v93, v42, 0x3b15, v29
	v_mul_f16_sdwa v32, v54, v56 dst_sel:DWORD dst_unused:UNUSED_PAD src0_sel:WORD_1 src1_sel:DWORD
	v_pack_b32_f16 v63, v63, v60
	v_fmamk_f16 v60, v65, 0x388b, v70
	v_mul_f16_e32 v91, 0xb94e, v52
	v_mul_f16_e32 v94, 0xb3a8, v52
	v_add_f16_e32 v93, v93, v0
	v_fmamk_f16 v95, v43, 0x388b, v32
	v_lshrrev_b32_e32 v98, 16, v43
	v_mul_f16_e32 v99, 0xbb7b, v54
	v_fma_f16 v70, v65, 0x388b, -v70
	v_fmamk_f16 v92, v65, 0xb5ac, v89
	v_fma_f16 v89, v65, 0xb5ac, -v89
	v_fmamk_f16 v56, v65, 0xb9fd, v91
	v_fma_f16 v91, v65, 0xb9fd, -v91
	v_fmamk_f16 v102, v65, 0xbbc4, v94
	v_fma_f16 v65, v65, 0xbbc4, -v94
	v_add_f16_e32 v93, v95, v93
	v_add_f16_sdwa v60, v60, v0 dst_sel:DWORD dst_unused:UNUSED_PAD src0_sel:DWORD src1_sel:WORD_1
	v_fmamk_f16 v94, v98, 0xb5ac, v99
	v_mul_f16_e32 v95, 0xb3a8, v54
	v_fma_f16 v99, v98, 0xb5ac, -v99
	v_add_f16_sdwa v70, v70, v0 dst_sel:DWORD dst_unused:UNUSED_PAD src0_sel:DWORD src1_sel:WORD_1
	v_add_f16_sdwa v90, v90, v0 dst_sel:DWORD dst_unused:UNUSED_PAD src0_sel:DWORD src1_sel:WORD_1
	v_mul_f16_e32 v103, 0x394e, v54
	v_fmamk_f16 v104, v98, 0xbbc4, v95
	v_fma_f16 v95, v98, 0xbbc4, -v95
	v_add_f16_sdwa v72, v72, v0 dst_sel:DWORD dst_unused:UNUSED_PAD src0_sel:DWORD src1_sel:WORD_1
	v_add_f16_e32 v60, v94, v60
	v_mul_f16_e32 v94, 0x3bf1, v54
	v_pk_mul_f16 v52, 0xb3a8b770, v52
	v_fmamk_f16 v105, v98, 0xb9fd, v103
	v_add_f16_e32 v70, v99, v70
	v_add_f16_e32 v90, v104, v90
	;; [unrolled: 1-line block ×3, first 2 shown]
	v_fma_f16 v95, v98, 0xb9fd, -v103
	v_add_f16_sdwa v89, v89, v0 dst_sel:DWORD dst_unused:UNUSED_PAD src0_sel:DWORD src1_sel:WORD_1
	v_add_f16_sdwa v99, v56, v0 dst_sel:DWORD dst_unused:UNUSED_PAD src0_sel:DWORD src1_sel:WORD_1
	v_fmamk_f16 v103, v98, 0x2fb7, v94
	v_fma_f16 v94, v98, 0x2fb7, -v94
	v_add_f16_sdwa v91, v91, v0 dst_sel:DWORD dst_unused:UNUSED_PAD src0_sel:DWORD src1_sel:WORD_1
	v_pk_fma_f16 v104, 0x3b15bbc4, v42, v52 op_sel:[0,0,1] op_sel_hi:[1,1,0] neg_lo:[0,0,1] neg_hi:[0,0,1]
	v_pk_mul_f16 v56, 0x3770ba95, v54
	v_add_f16_sdwa v92, v92, v0 dst_sel:DWORD dst_unused:UNUSED_PAD src0_sel:DWORD src1_sel:WORD_1
	v_add_f16_e32 v89, v95, v89
	v_add_f16_e32 v95, v103, v99
	;; [unrolled: 1-line block ×3, first 2 shown]
	v_pk_add_f16 v94, v104, v0
	v_pk_fma_f16 v99, 0x388b3b15, v43, v56 op_sel:[0,0,1] op_sel_hi:[1,1,0] neg_lo:[0,0,1] neg_hi:[0,0,1]
	v_mul_f16_e32 v103, 0x3770, v54
	v_mul_f16_sdwa v50, v55, v50 dst_sel:DWORD dst_unused:UNUSED_PAD src0_sel:WORD_1 src1_sel:DWORD
	v_lshrrev_b32_e32 v104, 16, v44
	v_mul_f16_e32 v54, 0xb3a8, v55
	v_add_f16_e32 v92, v105, v92
	v_add_f16_sdwa v65, v65, v0 dst_sel:DWORD dst_unused:UNUSED_PAD src0_sel:DWORD src1_sel:WORD_1
	v_fma_f16 v105, v98, 0x3b15, -v103
	v_pk_add_f16 v94, v99, v94
	v_fmamk_f16 v99, v44, 0x2fb7, v50
	v_fmamk_f16 v106, v104, 0xbbc4, v54
	v_mul_f16_e32 v107, 0x3b7b, v55
	v_fma_f16 v54, v104, 0xbbc4, -v54
	v_add_f16_e32 v65, v105, v65
	v_add_f16_e32 v93, v99, v93
	;; [unrolled: 1-line block ×3, first 2 shown]
	v_fmamk_f16 v99, v104, 0xb5ac, v107
	v_mul_f16_e32 v105, 0x3770, v55
	v_add_f16_e32 v70, v54, v70
	v_mul_f16_e32 v106, 0xba95, v55
	v_fma_f16 v54, v104, 0xb5ac, -v107
	v_add_f16_e32 v90, v99, v90
	v_fmamk_f16 v99, v104, 0x3b15, v105
	v_fma_f16 v105, v104, 0x3b15, -v105
	v_fmamk_f16 v107, v104, 0x388b, v106
	v_add_f16_e32 v72, v54, v72
	v_pk_mul_f16 v54, 0xb94ebbf1, v55
	v_add_f16_e32 v92, v99, v92
	v_add_f16_e32 v89, v105, v89
	;; [unrolled: 1-line block ×3, first 2 shown]
	v_fma_f16 v99, v104, 0x388b, -v106
	v_pk_fma_f16 v105, 0x2fb7b9fd, v44, v54 op_sel:[0,0,1] op_sel_hi:[1,1,0] neg_lo:[0,0,1] neg_hi:[0,0,1]
	v_mul_f16_e32 v106, 0xb94e, v55
	v_mul_f16_sdwa v48, v53, v48 dst_sel:DWORD dst_unused:UNUSED_PAD src0_sel:WORD_1 src1_sel:DWORD
	v_lshrrev_b32_e32 v107, 16, v45
	v_mul_f16_e32 v55, 0x394e, v53
	v_add_f16_e32 v91, v99, v91
	v_fma_f16 v99, v104, 0xb9fd, -v106
	v_pk_add_f16 v94, v105, v94
	v_fmamk_f16 v105, v45, 0xb5ac, v48
	v_fmamk_f16 v108, v107, 0xb9fd, v55
	v_mul_f16_e32 v109, 0x3770, v53
	v_fma_f16 v55, v107, 0xb9fd, -v55
	v_add_f16_e32 v65, v99, v65
	v_add_f16_e32 v93, v105, v93
	v_add_f16_e32 v60, v108, v60
	v_fmamk_f16 v99, v107, 0x3b15, v109
	v_mul_f16_e32 v105, 0xbbf1, v53
	v_add_f16_e32 v70, v55, v70
	v_mul_f16_e32 v108, 0x33a8, v53
	v_fma_f16 v55, v107, 0x3b15, -v109
	v_add_f16_e32 v90, v99, v90
	v_fmamk_f16 v99, v107, 0x2fb7, v105
	v_fma_f16 v105, v107, 0x2fb7, -v105
	v_fmamk_f16 v109, v107, 0xbbc4, v108
	v_add_f16_e32 v72, v55, v72
	v_pk_mul_f16 v55, 0x3a95bb7b, v53
	v_add_f16_e32 v92, v99, v92
	v_add_f16_e32 v89, v105, v89
	;; [unrolled: 1-line block ×3, first 2 shown]
	v_fma_f16 v99, v107, 0xbbc4, -v108
	v_pk_fma_f16 v105, 0xb5ac388b, v45, v55 op_sel:[0,0,1] op_sel_hi:[1,1,0] neg_lo:[0,0,1] neg_hi:[0,0,1]
	v_mul_f16_e32 v108, 0x3a95, v53
	v_mul_f16_sdwa v47, v59, v47 dst_sel:DWORD dst_unused:UNUSED_PAD src0_sel:WORD_1 src1_sel:DWORD
	v_lshrrev_b32_e32 v109, 16, v49
	v_mul_f16_e32 v53, 0x3bf1, v59
	v_add_f16_e32 v91, v99, v91
	v_fma_f16 v99, v107, 0x388b, -v108
	v_pk_add_f16 v94, v105, v94
	v_fmamk_f16 v105, v49, 0xb9fd, v47
	v_fmamk_f16 v110, v109, 0x2fb7, v53
	v_mul_f16_e32 v111, 0xba95, v59
	v_fma_f16 v53, v109, 0x2fb7, -v53
	v_add_f16_e32 v65, v99, v65
	v_add_f16_e32 v93, v105, v93
	v_add_f16_e32 v60, v110, v60
	v_fmamk_f16 v99, v109, 0x388b, v111
	v_mul_f16_e32 v105, 0x33a8, v59
	v_add_f16_e32 v70, v53, v70
	v_fma_f16 v53, v109, 0x388b, -v111
	v_mul_f16_e32 v110, 0x3770, v59
	v_add_f16_e32 v99, v99, v90
	v_fmamk_f16 v90, v109, 0xbbc4, v105
	v_fma_f16 v105, v109, 0xbbc4, -v105
	v_add_f16_e32 v72, v53, v72
	v_fmamk_f16 v111, v109, 0x3b15, v110
	v_fma_f16 v110, v109, 0x3b15, -v110
	v_pk_mul_f16 v53, 0xbb7bb94e, v59
	v_add_f16_e32 v89, v105, v89
	v_mul_f16_sdwa v46, v58, v46 dst_sel:DWORD dst_unused:UNUSED_PAD src0_sel:WORD_1 src1_sel:DWORD
	v_add_f16_e32 v95, v111, v95
	v_add_f16_e32 v105, v110, v91
	v_mul_f16_e32 v110, 0xbb7b, v59
	v_pk_fma_f16 v59, 0xb9fdb5ac, v49, v53 op_sel:[0,0,1] op_sel_hi:[1,1,0] neg_lo:[0,0,1] neg_hi:[0,0,1]
	v_lshrrev_b32_e32 v111, 16, v51
	v_mul_f16_e32 v91, 0x3770, v58
	v_add_f16_e32 v112, v90, v92
	v_fma_f16 v90, v109, 0xb5ac, -v110
	v_fmamk_f16 v92, v51, 0xbbc4, v46
	v_pk_add_f16 v113, v59, v94
	v_mul_f16_e32 v114, 0xb94e, v58
	v_fmamk_f16 v59, v111, 0x3b15, v91
	v_add_f16_e32 v65, v90, v65
	v_add_f16_e32 v90, v92, v93
	v_fma_f16 v91, v111, 0x3b15, -v91
	v_fmamk_f16 v92, v111, 0xb9fd, v114
	v_add_f16_e32 v93, v59, v60
	v_pk_fma_f16 v60, 0x3b15bbc4, v42, v52 op_sel:[0,0,1] op_sel_hi:[1,1,0]
	v_mul_f16_e32 v98, 0x3b15, v98
	v_pk_mul_f16 v59, 0x388b3b15, v43
	v_add_f16_e32 v91, v91, v70
	v_add_f16_e32 v94, v92, v99
	v_pack_b32_f16 v60, v103, v60
	v_perm_b32 v70, v0, v98, 0x5040100
	v_mul_f16_e32 v99, 0x3a95, v58
	v_pack_b32_f16 v98, v102, v59
	v_perm_b32 v102, v56, v0, 0x7060302
	v_fmac_f16_e32 v35, 0x388b, v38
	v_fma_f16 v92, v111, 0xb9fd, -v114
	v_pk_add_f16 v70, v60, v70
	v_fmamk_f16 v103, v111, 0x388b, v99
	v_pk_mul_f16 v60, 0x2fb7b9fd, v44
	v_mul_f16_e32 v104, 0xb9fd, v104
	v_pk_add_f16 v102, v98, v102
	v_add_f16_e32 v35, v35, v100
	v_fmac_f16_e32 v40, 0x2fb7, v30
	v_add_f16_e32 v92, v92, v72
	v_add_f16_e32 v98, v103, v112
	v_pack_b32_f16 v72, v106, v60
	v_bfi_b32 v103, 0xffff, v104, v54
	v_pk_add_f16 v70, v102, v70
	v_pk_mul_f16 v38, 0xb5ac388b, v45
	v_mul_f16_e32 v102, 0x388b, v107
	v_add_f16_e32 v31, v31, v101
	v_add_f16_e32 v35, v40, v35
	v_fmac_f16_e32 v66, 0xb5ac, v62
	v_pk_mul_f16 v30, 0xb9fdb5ac, v49
	v_mul_f16_e32 v62, 0xb5ac, v109
	v_pk_add_f16 v72, v72, v103
	v_pack_b32_f16 v100, v108, v38
	v_bfi_b32 v102, 0xffff, v102, v55
	v_mul_f16_e32 v40, 0xbb7b, v58
	v_add_f16_e32 v31, v36, v31
	v_add_f16_e32 v35, v66, v35
	v_pack_b32_f16 v66, v110, v30
	v_bfi_b32 v62, 0xffff, v62, v53
	v_fmac_f16_e32 v68, 0xb9fd, v37
	v_pk_add_f16 v70, v72, v70
	v_pk_add_f16 v72, v100, v102
	v_fmamk_f16 v36, v111, 0xb5ac, v40
	v_add_f16_e32 v37, v39, v31
	v_pk_add_f16 v39, v66, v62
	v_add_f16_e32 v62, v68, v35
	v_fma_f16 v40, v111, 0xb5ac, -v40
	v_pk_mul_f16 v35, 0x3bf1b3a8, v58
	v_mul_f16_e32 v58, 0x3bf1, v58
	v_mul_f16_e32 v66, 0x2fb7, v111
	v_pk_mul_f16 v31, 0xbbc42fb7, v51
	v_add_f16_e32 v103, v36, v95
	v_pk_add_f16 v36, v72, v70
	v_add_f16_e32 v37, v67, v37
	v_add_f16_e32 v104, v40, v105
	v_bfi_b32 v40, 0xffff, v66, v35
	v_pack_b32_f16 v66, v58, v31
	v_fmac_f16_e32 v34, 0xbbc4, v69
	v_fma_f16 v99, v111, 0x388b, -v99
	v_add_f16_e32 v33, v33, v37
	v_pk_fma_f16 v37, 0xbbc42fb7, v51, v35 op_sel:[0,0,1] op_sel_hi:[1,1,0] neg_lo:[0,0,1] neg_hi:[0,0,1]
	v_pk_add_f16 v36, v39, v36
	v_pk_add_f16 v39, v66, v40
	v_fma_f16 v40, v111, 0x2fb7, -v58
	v_add_co_u32 v58, s2, 0x75, v85
	v_add_f16_e32 v34, v34, v62
	v_add_f16_e32 v99, v99, v89
	v_pk_add_f16 v102, v37, v113
	v_pk_add_f16 v106, v39, v36
	v_add_f16_e32 v105, v40, v65
	v_mul_u32_u24_e32 v89, 13, v58
	v_pack_b32_f16 v33, v34, v33
	v_add_co_ci_u32_e64 v34, null, 0, 0, s2
	ds_write2_b32 v88, v96, v97 offset0:6 offset1:7
	ds_write2_b32 v88, v61, v64 offset0:8 offset1:9
	;; [unrolled: 1-line block ×3, first 2 shown]
	ds_write_b32 v88, v33 offset:48
	s_and_saveexec_b32 s2, vcc_lo
	s_cbranch_execz .LBB0_7
; %bb.6:
	v_pk_add_f16 v1, v1, v0
	v_mul_f16_e32 v33, 0x3b15, v42
	v_pk_mul_f16 v42, 0x3b15bbc4, v42
	v_mul_f16_e32 v34, 0x388b, v43
	v_alignbit_b32 v43, v52, v52, 16
	v_pk_add_f16 v1, v10, v1
	v_mul_f16_e32 v36, 0x2fb7, v44
	v_bfi_b32 v29, 0xffff, v29, v42
	v_alignbit_b32 v44, v56, v56, 16
	v_bfi_b32 v32, 0xffff, v32, v59
	v_pk_add_f16 v1, v11, v1
	v_alignbit_b32 v10, v54, v54, 16
	v_pk_add_f16 v29, v33, v29 neg_lo:[0,1] neg_hi:[0,1]
	v_pk_add_f16 v33, v43, v42
	v_pk_add_f16 v32, v34, v32 neg_lo:[0,1] neg_hi:[0,1]
	v_pk_add_f16 v1, v8, v1
	v_pk_add_f16 v8, v44, v59
	v_bfi_b32 v34, 0xffff, v50, v60
	v_bfi_b32 v29, 0xffff, v29, v33
	v_mul_f16_e32 v37, 0xb5ac, v45
	v_pk_add_f16 v1, v9, v1
	v_alignbit_b32 v45, v55, v55, 16
	v_bfi_b32 v33, 0xffff, v48, v38
	v_bfi_b32 v8, 0xffff, v32, v8
	v_pk_add_f16 v9, v36, v34 neg_lo:[0,1] neg_hi:[0,1]
	v_pk_add_f16 v1, v6, v1
	v_pk_add_f16 v10, v10, v60
	;; [unrolled: 1-line block ×3, first 2 shown]
	v_mul_f16_e32 v39, 0xb9fd, v49
	v_alignbit_b32 v11, v53, v53, 16
	v_pk_add_f16 v1, v7, v1
	v_pk_add_f16 v32, v37, v33 neg_lo:[0,1] neg_hi:[0,1]
	v_pk_add_f16 v6, v45, v38
	v_bfi_b32 v29, 0xffff, v47, v30
	v_bfi_b32 v9, 0xffff, v9, v10
	v_pk_add_f16 v0, v8, v0
	v_pk_add_f16 v1, v4, v1
	v_mul_f16_e32 v40, 0xbbc4, v51
	v_bfi_b32 v6, 0xffff, v32, v6
	v_pk_add_f16 v7, v39, v29 neg_lo:[0,1] neg_hi:[0,1]
	v_pk_add_f16 v8, v11, v30
	v_pk_add_f16 v0, v9, v0
	v_bfi_b32 v4, 0xffff, v46, v31
	v_alignbit_b32 v9, v35, v35, 16
	v_pk_add_f16 v1, v5, v1
	v_bfi_b32 v7, 0xffff, v7, v8
	v_pk_add_f16 v0, v6, v0
	v_pk_add_f16 v4, v40, v4 neg_lo:[0,1] neg_hi:[0,1]
	v_pk_add_f16 v5, v9, v31
	v_pk_add_f16 v1, v2, v1
	v_perm_b32 v6, v104, v27, 0x5040100
	v_pk_add_f16 v0, v7, v0
	v_perm_b32 v7, v91, v22, 0x5040100
	v_bfi_b32 v2, 0xffff, v4, v5
	v_pk_add_f16 v1, v3, v1
	v_lshlrev_b32_e32 v3, 2, v89
	v_perm_b32 v4, v93, v23, 0x5040100
	v_perm_b32 v5, v103, v26, 0x5040100
	v_pk_add_f16 v0, v2, v0
	v_perm_b32 v2, v94, v24, 0x5040100
	v_pk_add_f16 v1, v41, v1
	ds_write2_b32 v3, v4, v2 offset0:2 offset1:3
	ds_write2_b32 v3, v1, v0 offset1:1
	v_perm_b32 v0, v98, v25, 0x5040100
	v_perm_b32 v1, v106, v102, 0x5040100
	v_alignbit_b32 v2, v105, v106, 16
	v_perm_b32 v4, v99, v28, 0x5040100
	v_perm_b32 v8, v92, v21, 0x5040100
	v_bfi_b32 v9, 0xffff, v90, v102
	ds_write2_b32 v3, v0, v5 offset0:4 offset1:5
	ds_write2_b32 v3, v1, v2 offset0:6 offset1:7
	;; [unrolled: 1-line block ×4, first 2 shown]
	ds_write_b32 v3, v9 offset:48
.LBB0_7:
	s_or_b32 exec_lo, exec_lo, s2
	v_and_b32_e32 v11, 0xff, v85
	v_and_b32_e32 v45, 0xff, v58
	v_add_co_u32 v0, null, 0xea, v85
	v_mov_b32_e32 v3, 0x4ec5
	v_mul_lo_u16 v1, 0x4f, v11
	v_mul_lo_u16 v2, 0x4f, v45
	s_waitcnt lgkmcnt(0)
	s_barrier
	v_mul_u32_u24_sdwa v4, v0, v3 dst_sel:DWORD dst_unused:UNUSED_PAD src0_sel:WORD_0 src1_sel:DWORD
	v_lshrrev_b16 v46, 10, v1
	v_add_nc_u32_e32 v1, 0x15f, v85
	v_lshrrev_b16 v47, 10, v2
	v_add_nc_u32_e32 v2, 0x1d4, v85
	v_lshrrev_b32_e32 v48, 18, v4
	v_mul_lo_u16 v5, v46, 13
	v_mul_u32_u24_sdwa v6, v1, v3 dst_sel:DWORD dst_unused:UNUSED_PAD src0_sel:WORD_0 src1_sel:DWORD
	v_mul_lo_u16 v4, v47, 13
	v_mul_u32_u24_sdwa v3, v2, v3 dst_sel:DWORD dst_unused:UNUSED_PAD src0_sel:WORD_0 src1_sel:DWORD
	buffer_gl0_inv
	v_sub_nc_u16 v5, v85, v5
	v_lshrrev_b32_e32 v49, 18, v6
	v_mul_lo_u16 v6, v48, 13
	v_sub_nc_u16 v4, v58, v4
	v_lshrrev_b32_e32 v51, 18, v3
	v_and_b32_e32 v50, 0xff, v5
	v_mul_lo_u16 v3, v49, 13
	v_sub_nc_u16 v52, v0, v6
	v_and_b32_e32 v53, 0xff, v4
	v_mul_lo_u16 v5, v51, 13
	v_lshlrev_b32_e32 v4, 3, v50
	v_sub_nc_u16 v54, v1, v3
	v_lshlrev_b16 v3, 1, v52
	v_lshlrev_b32_e32 v6, 3, v53
	v_sub_nc_u16 v55, v2, v5
	global_load_dwordx2 v[37:38], v4, s[0:1]
	v_mov_b32_e32 v60, 0xa41b
	v_lshlrev_b32_sdwa v3, v57, v3 dst_sel:DWORD dst_unused:UNUSED_PAD src0_sel:DWORD src1_sel:WORD_0
	global_load_dwordx2 v[35:36], v6, s[0:1]
	v_lshlrev_b16 v5, 1, v55
	v_mul_lo_u16 v11, 0xa5, v11
	v_mul_lo_u16 v45, 0xa5, v45
	global_load_dwordx2 v[33:34], v3, s[0:1]
	v_lshlrev_b16 v4, 1, v54
	v_lshlrev_b32_sdwa v3, v57, v5 dst_sel:DWORD dst_unused:UNUSED_PAD src0_sel:DWORD src1_sel:WORD_0
	v_mov_b32_e32 v59, 39
	v_mul_u32_u24_sdwa v61, v0, v60 dst_sel:DWORD dst_unused:UNUSED_PAD src0_sel:WORD_0 src1_sel:DWORD
	v_mul_u32_u24_sdwa v62, v1, v60 dst_sel:DWORD dst_unused:UNUSED_PAD src0_sel:WORD_0 src1_sel:DWORD
	v_lshlrev_b32_sdwa v4, v57, v4 dst_sel:DWORD dst_unused:UNUSED_PAD src0_sel:DWORD src1_sel:WORD_0
	v_lshrrev_b16 v11, 8, v11
	s_clause 0x1
	global_load_dwordx2 v[31:32], v4, s[0:1]
	global_load_dwordx2 v[29:30], v3, s[0:1]
	v_lshrrev_b16 v45, 8, v45
	v_mul_u32_u24_sdwa v60, v2, v60 dst_sel:DWORD dst_unused:UNUSED_PAD src0_sel:WORD_0 src1_sel:DWORD
	v_lshrrev_b32_e32 v61, 16, v61
	v_lshrrev_b32_e32 v62, 16, v62
	v_mul_u32_u24_sdwa v46, v46, v59 dst_sel:DWORD dst_unused:UNUSED_PAD src0_sel:WORD_0 src1_sel:DWORD
	v_mul_u32_u24_sdwa v47, v47, v59 dst_sel:DWORD dst_unused:UNUSED_PAD src0_sel:WORD_0 src1_sel:DWORD
	v_sub_nc_u16 v59, v85, v11
	v_sub_nc_u16 v68, v58, v45
	v_lshrrev_b32_e32 v60, 16, v60
	v_sub_nc_u16 v69, v0, v61
	v_sub_nc_u16 v70, v1, v62
	v_lshrrev_b16 v59, 1, v59
	v_lshrrev_b16 v68, 1, v68
	v_sub_nc_u16 v72, v2, v60
	v_lshrrev_b16 v69, 1, v69
	v_lshrrev_b16 v70, 1, v70
	v_mad_u16 v48, v48, 39, v52
	v_mad_u16 v49, v49, 39, v54
	v_and_b32_e32 v52, 0x7f, v59
	v_and_b32_e32 v54, 0x7f, v68
	v_add_nc_u32_e32 v64, 0x600, v73
	v_add_nc_u32_e32 v63, 0x1200, v73
	v_lshrrev_b16 v72, 1, v72
	v_mad_u16 v51, v51, 39, v55
	v_add_nc_u16 v55, v69, v61
	v_add_nc_u16 v59, v70, v62
	;; [unrolled: 1-line block ×4, first 2 shown]
	v_add_nc_u32_e32 v65, 0xa00, v73
	v_add_nc_u32_e32 v67, 0x200, v73
	v_add_nc_u32_e32 v71, 0x1400, v73
	ds_read2_b32 v[3:4], v73 offset1:117
	v_add_nc_u32_e32 v66, 0xe00, v73
	ds_read_b32 v56, v73 offset:6552
	ds_read2_b32 v[5:6], v64 offset0:84 offset1:201
	ds_read2_b32 v[7:8], v63 offset0:18 offset1:135
	;; [unrolled: 1-line block ×6, first 2 shown]
	v_add_nc_u16 v60, v72, v60
	v_add_lshl_u32 v101, v46, v50, 2
	v_lshlrev_b32_sdwa v96, v57, v49 dst_sel:DWORD dst_unused:UNUSED_PAD src0_sel:DWORD src1_sel:WORD_0
	v_lshrrev_b16 v49, 5, v55
	v_lshrrev_b16 v50, 5, v59
	;; [unrolled: 1-line block ×4, first 2 shown]
	v_lshlrev_b32_sdwa v95, v57, v51 dst_sel:DWORD dst_unused:UNUSED_PAD src0_sel:DWORD src1_sel:WORD_0
	v_lshrrev_b16 v51, 5, v60
	v_mul_lo_u16 v46, v50, 39
	v_and_b32_e32 v11, 7, v11
	v_and_b32_e32 v52, 7, v45
	v_mul_lo_u16 v45, v49, 39
	v_add_lshl_u32 v100, v47, v53, 2
	v_lshlrev_b32_sdwa v97, v57, v48 dst_sel:DWORD dst_unused:UNUSED_PAD src0_sel:DWORD src1_sel:WORD_0
	v_mul_lo_u16 v47, v51, 39
	v_mul_lo_u16 v48, v11, 39
	v_sub_nc_u16 v54, v0, v45
	v_sub_nc_u16 v55, v1, v46
	s_waitcnt lgkmcnt(5)
	v_lshrrev_b32_e32 v110, 16, v6
	s_waitcnt lgkmcnt(4)
	v_lshrrev_b32_e32 v111, 16, v7
	v_sub_nc_u16 v59, v2, v47
	v_sub_nc_u16 v45, v85, v48
	v_lshlrev_b16 v47, 3, v54
	v_lshlrev_b16 v48, 3, v55
	s_waitcnt lgkmcnt(3)
	v_lshrrev_b32_e32 v112, 16, v9
	v_lshrrev_b32_e32 v113, 16, v8
	;; [unrolled: 1-line block ×3, first 2 shown]
	s_waitcnt lgkmcnt(1)
	v_lshrrev_b32_e32 v116, 16, v41
	v_lshrrev_b32_e32 v109, 16, v56
	s_waitcnt lgkmcnt(0)
	v_lshrrev_b32_e32 v118, 16, v43
	v_lshrrev_b32_e32 v119, 16, v42
	;; [unrolled: 1-line block ×3, first 2 shown]
	v_and_b32_e32 v60, 0xff, v45
	v_and_b32_e32 v45, 0xffff, v47
	;; [unrolled: 1-line block ×3, first 2 shown]
	v_lshrrev_b32_e32 v107, 16, v3
	v_lshrrev_b32_e32 v108, 16, v4
	;; [unrolled: 1-line block ×5, first 2 shown]
	v_mul_lo_u16 v53, v52, 39
	s_waitcnt vmcnt(0)
	s_barrier
	buffer_gl0_inv
	v_mad_u16 v54, 0x75, v49, v54
	v_sub_nc_u16 v46, v58, v53
	v_lshlrev_b16 v53, 3, v59
	v_mad_u16 v55, 0x75, v50, v55
	v_mad_u16 v59, 0x75, v51, v59
	v_and_b32_e32 v61, 0xff, v46
	v_and_b32_e32 v53, 0xffff, v53
	v_lshlrev_b32_e32 v46, 3, v60
	v_lshlrev_b32_e32 v68, 3, v61
	v_mul_f16_sdwa v47, v110, v37 dst_sel:DWORD dst_unused:UNUSED_PAD src0_sel:DWORD src1_sel:WORD_1
	v_mul_f16_sdwa v48, v6, v37 dst_sel:DWORD dst_unused:UNUSED_PAD src0_sel:DWORD src1_sel:WORD_1
	;; [unrolled: 1-line block ×12, first 2 shown]
	v_fma_f16 v6, v6, v37, -v47
	v_fmac_f16_e32 v48, v110, v37
	v_fma_f16 v7, v7, v38, -v69
	v_fmac_f16_e32 v70, v111, v38
	v_fma_f16 v9, v9, v35, -v72
	v_mul_f16_sdwa v129, v118, v31 dst_sel:DWORD dst_unused:UNUSED_PAD src0_sel:DWORD src1_sel:WORD_1
	v_mul_f16_sdwa v130, v43, v31 dst_sel:DWORD dst_unused:UNUSED_PAD src0_sel:DWORD src1_sel:WORD_1
	;; [unrolled: 1-line block ×8, first 2 shown]
	v_fmac_f16_e32 v122, v112, v35
	v_fma_f16 v8, v8, v36, -v123
	v_fmac_f16_e32 v124, v113, v36
	v_fma_f16 v10, v10, v33, -v125
	v_fmac_f16_e32 v126, v115, v33
	v_fma_f16 v41, v41, v34, -v127
	v_fmac_f16_e32 v128, v116, v34
	v_fma_f16 v43, v43, v31, -v129
	v_fmac_f16_e32 v130, v118, v31
	v_fma_f16 v42, v42, v32, -v131
	v_fmac_f16_e32 v132, v119, v32
	v_fma_f16 v44, v44, v29, -v133
	v_fmac_f16_e32 v134, v121, v29
	v_fma_f16 v47, v56, v30, -v135
	v_fmac_f16_e32 v136, v109, v30
	v_add_f16_e32 v69, v6, v7
	v_sub_f16_e32 v72, v48, v70
	v_add_f16_e32 v109, v107, v48
	v_add_f16_e32 v48, v48, v70
	v_add_f16_e32 v111, v9, v8
	v_add_f16_e32 v115, v122, v124
	v_sub_f16_e32 v112, v122, v124
	v_add_f16_e32 v113, v108, v122
	v_add_f16_e32 v118, v10, v41
	;; [unrolled: 1-line block ×4, first 2 shown]
	v_sub_f16_e32 v6, v6, v7
	v_add_f16_e32 v110, v4, v9
	v_sub_f16_e32 v119, v126, v128
	v_add_f16_e32 v121, v114, v126
	v_add_f16_e32 v125, v43, v42
	v_sub_f16_e32 v126, v130, v132
	v_add_f16_e32 v127, v117, v130
	v_add_f16_e32 v129, v130, v132
	v_add_f16_e32 v130, v5, v44
	v_add_f16_e32 v131, v44, v47
	v_sub_f16_e32 v133, v134, v136
	v_add_f16_e32 v135, v120, v134
	v_add_f16_e32 v134, v134, v136
	v_fma_f16 v3, -0.5, v69, v3
	v_fmac_f16_e32 v107, -0.5, v48
	v_sub_f16_e32 v9, v9, v8
	v_fmac_f16_e32 v4, -0.5, v111
	v_fmac_f16_e32 v108, -0.5, v115
	v_add_f16_e32 v116, v39, v10
	v_sub_f16_e32 v10, v10, v41
	v_fma_f16 v39, -0.5, v118, v39
	v_fmac_f16_e32 v114, -0.5, v122
	v_add_f16_e32 v123, v40, v43
	v_sub_f16_e32 v43, v43, v42
	v_sub_f16_e32 v44, v44, v47
	v_add_f16_e32 v7, v56, v7
	v_add_f16_e32 v56, v109, v70
	v_add_f16_e32 v8, v110, v8
	v_fmac_f16_e32 v40, -0.5, v125
	v_fmac_f16_e32 v117, -0.5, v129
	v_add_f16_e32 v47, v130, v47
	v_fmac_f16_e32 v5, -0.5, v131
	v_add_f16_e32 v109, v135, v136
	v_fmac_f16_e32 v120, -0.5, v134
	v_fmamk_f16 v110, v72, 0x3aee, v3
	v_fmac_f16_e32 v3, 0xbaee, v72
	v_fmamk_f16 v72, v6, 0xbaee, v107
	v_fmac_f16_e32 v107, 0x3aee, v6
	v_add_f16_e32 v48, v113, v124
	v_fmamk_f16 v6, v112, 0x3aee, v4
	v_fmamk_f16 v111, v9, 0xbaee, v108
	v_fmac_f16_e32 v4, 0xbaee, v112
	v_fmac_f16_e32 v108, 0x3aee, v9
	v_add_f16_e32 v41, v116, v41
	v_add_f16_e32 v69, v121, v128
	v_fmamk_f16 v9, v119, 0x3aee, v39
	v_fmamk_f16 v112, v10, 0xbaee, v114
	v_add_f16_e32 v42, v123, v42
	v_add_f16_e32 v70, v127, v132
	v_fmac_f16_e32 v39, 0xbaee, v119
	v_fmac_f16_e32 v114, 0x3aee, v10
	v_fmamk_f16 v10, v126, 0x3aee, v40
	v_fmac_f16_e32 v40, 0xbaee, v126
	v_fmamk_f16 v113, v43, 0xbaee, v117
	;; [unrolled: 2-line block ×4, first 2 shown]
	v_fmac_f16_e32 v120, 0x3aee, v44
	v_pack_b32_f16 v7, v7, v56
	v_pack_b32_f16 v44, v47, v109
	;; [unrolled: 1-line block ×15, first 2 shown]
	ds_write2_b32 v101, v7, v47 offset1:13
	ds_write_b32 v101, v3 offset:104
	ds_write2_b32 v100, v8, v6 offset1:13
	ds_write_b32 v100, v4 offset:104
	ds_write2_b32 v97, v41, v9 offset1:13
	ds_write_b32 v97, v39 offset:104
	ds_write2_b32 v96, v42, v10 offset1:13
	ds_write_b32 v96, v40 offset:104
	ds_write2_b32 v95, v44, v43 offset1:13
	ds_write_b32 v95, v5 offset:104
	v_add_co_u32 v3, s2, s0, v45
	v_add_co_ci_u32_e64 v4, null, s1, 0, s2
	v_add_co_u32 v5, s2, s0, v62
	s_waitcnt lgkmcnt(0)
	s_barrier
	buffer_gl0_inv
	s_clause 0x1
	global_load_dwordx2 v[47:48], v46, s[0:1] offset:104
	global_load_dwordx2 v[43:44], v[3:4], off offset:104
	v_add_co_ci_u32_e64 v6, null, s1, 0, s2
	v_add_co_u32 v3, s2, s0, v53
	v_add_co_ci_u32_e64 v4, null, s1, 0, s2
	s_clause 0x2
	global_load_dwordx2 v[45:46], v68, s[0:1] offset:104
	global_load_dwordx2 v[41:42], v[5:6], off offset:104
	global_load_dwordx2 v[39:40], v[3:4], off offset:104
	v_mov_b32_e32 v3, 0x8c09
	v_mov_b32_e32 v53, 0x75
	v_lshlrev_b32_sdwa v110, v57, v54 dst_sel:DWORD dst_unused:UNUSED_PAD src0_sel:DWORD src1_sel:WORD_0
	v_lshlrev_b32_sdwa v109, v57, v55 dst_sel:DWORD dst_unused:UNUSED_PAD src0_sel:DWORD src1_sel:WORD_0
	;; [unrolled: 1-line block ×3, first 2 shown]
	v_mul_u32_u24_sdwa v4, v0, v3 dst_sel:DWORD dst_unused:UNUSED_PAD src0_sel:WORD_0 src1_sel:DWORD
	v_mul_u32_u24_sdwa v5, v1, v3 dst_sel:DWORD dst_unused:UNUSED_PAD src0_sel:WORD_0 src1_sel:DWORD
	;; [unrolled: 1-line block ×5, first 2 shown]
	v_lshrrev_b32_e32 v4, 22, v4
	v_lshrrev_b32_e32 v5, 22, v5
	v_lshrrev_b32_e32 v3, 22, v3
	v_add_lshl_u32 v114, v11, v60, 2
	v_add_lshl_u32 v113, v53, v61, 2
	v_mul_lo_u16 v4, 0x75, v4
	v_mul_lo_u16 v5, 0x75, v5
	;; [unrolled: 1-line block ×3, first 2 shown]
	v_lshlrev_b32_e32 v56, 3, v85
	v_sub_nc_u16 v62, v0, v4
	v_sub_nc_u16 v68, v1, v5
	;; [unrolled: 1-line block ×3, first 2 shown]
	v_lshlrev_b32_e32 v0, 4, v0
	v_lshlrev_b16 v1, 3, v62
	v_lshlrev_b16 v2, 3, v68
	;; [unrolled: 1-line block ×3, first 2 shown]
	v_and_b32_e32 v70, 0xffff, v1
	v_and_b32_e32 v72, 0xffff, v2
	v_and_b32_e32 v107, 0xffff, v3
	ds_read2_b32 v[1:2], v73 offset1:117
	ds_read2_b32 v[3:4], v64 offset0:84 offset1:201
	ds_read2_b32 v[5:6], v63 offset0:18 offset1:135
	;; [unrolled: 1-line block ×5, first 2 shown]
	ds_read_b32 v54, v73 offset:6552
	ds_read2_b32 v[9:10], v67 offset0:106 offset1:223
	s_waitcnt vmcnt(0) lgkmcnt(0)
	s_barrier
	buffer_gl0_inv
	v_lshrrev_b32_e32 v11, 16, v1
	v_lshrrev_b32_e32 v53, 16, v4
	;; [unrolled: 1-line block ×15, first 2 shown]
	v_mul_f16_sdwa v122, v53, v47 dst_sel:DWORD dst_unused:UNUSED_PAD src0_sel:DWORD src1_sel:WORD_1
	v_mul_f16_sdwa v123, v4, v47 dst_sel:DWORD dst_unused:UNUSED_PAD src0_sel:DWORD src1_sel:WORD_1
	;; [unrolled: 1-line block ×20, first 2 shown]
	v_fma_f16 v4, v4, v47, -v122
	v_fmac_f16_e32 v123, v53, v47
	v_fma_f16 v5, v5, v48, -v124
	v_fmac_f16_e32 v125, v55, v48
	;; [unrolled: 2-line block ×10, first 2 shown]
	v_add_f16_e32 v55, v4, v5
	v_add_f16_e32 v112, v123, v125
	;; [unrolled: 1-line block ×4, first 2 shown]
	v_sub_f16_e32 v60, v123, v125
	v_add_f16_e32 v61, v11, v123
	v_sub_f16_e32 v118, v127, v129
	v_add_f16_e32 v120, v59, v127
	v_add_f16_e32 v123, v8, v49
	;; [unrolled: 1-line block ×4, first 2 shown]
	v_sub_f16_e32 v4, v4, v5
	v_add_f16_e32 v115, v2, v7
	v_sub_f16_e32 v124, v131, v133
	v_add_f16_e32 v126, v111, v131
	v_add_f16_e32 v130, v51, v50
	v_sub_f16_e32 v131, v135, v137
	v_add_f16_e32 v132, v116, v135
	v_add_f16_e32 v134, v135, v137
	;; [unrolled: 1-line block ×4, first 2 shown]
	v_sub_f16_e32 v138, v139, v141
	v_add_f16_e32 v140, v119, v139
	v_add_f16_e32 v139, v139, v141
	v_fma_f16 v1, -0.5, v55, v1
	v_fmac_f16_e32 v11, -0.5, v112
	v_sub_f16_e32 v7, v7, v6
	v_fmac_f16_e32 v2, -0.5, v117
	v_fmac_f16_e32 v59, -0.5, v121
	v_add_f16_e32 v122, v9, v8
	v_sub_f16_e32 v8, v8, v49
	v_fma_f16 v9, -0.5, v123, v9
	v_fmac_f16_e32 v111, -0.5, v127
	v_add_f16_e32 v128, v10, v51
	v_sub_f16_e32 v51, v51, v50
	v_sub_f16_e32 v52, v52, v53
	v_add_f16_e32 v5, v54, v5
	v_add_f16_e32 v54, v61, v125
	;; [unrolled: 1-line block ×3, first 2 shown]
	v_fmac_f16_e32 v10, -0.5, v130
	v_fmac_f16_e32 v116, -0.5, v134
	v_add_f16_e32 v53, v135, v53
	v_fmac_f16_e32 v3, -0.5, v136
	v_add_f16_e32 v115, v140, v141
	v_fmac_f16_e32 v119, -0.5, v139
	v_fmamk_f16 v117, v60, 0x3aee, v1
	v_fmac_f16_e32 v1, 0xbaee, v60
	v_fmamk_f16 v60, v4, 0xbaee, v11
	v_fmac_f16_e32 v11, 0x3aee, v4
	v_add_f16_e32 v55, v120, v129
	v_fmamk_f16 v4, v118, 0x3aee, v2
	v_fmac_f16_e32 v2, 0xbaee, v118
	v_fmamk_f16 v118, v7, 0xbaee, v59
	v_fmac_f16_e32 v59, 0x3aee, v7
	v_add_f16_e32 v49, v122, v49
	v_add_f16_e32 v61, v126, v133
	v_fmamk_f16 v7, v124, 0x3aee, v9
	v_fmamk_f16 v120, v8, 0xbaee, v111
	v_add_f16_e32 v50, v128, v50
	v_add_f16_e32 v112, v132, v137
	v_fmac_f16_e32 v9, 0xbaee, v124
	v_fmac_f16_e32 v111, 0x3aee, v8
	v_fmamk_f16 v8, v131, 0x3aee, v10
	v_fmac_f16_e32 v10, 0xbaee, v131
	v_fmamk_f16 v121, v51, 0xbaee, v116
	;; [unrolled: 2-line block ×4, first 2 shown]
	v_fmac_f16_e32 v119, 0x3aee, v52
	v_pack_b32_f16 v5, v5, v54
	v_pack_b32_f16 v52, v53, v115
	;; [unrolled: 1-line block ×15, first 2 shown]
	ds_write2_b32 v114, v5, v53 offset1:39
	ds_write_b32 v114, v1 offset:312
	ds_write2_b32 v113, v6, v4 offset1:39
	ds_write_b32 v113, v2 offset:312
	;; [unrolled: 2-line block ×5, first 2 shown]
	v_add_co_u32 v1, s2, s0, v70
	v_add_co_ci_u32_e64 v2, null, s1, 0, s2
	v_add_co_u32 v3, s2, s0, v72
	s_waitcnt lgkmcnt(0)
	s_barrier
	buffer_gl0_inv
	s_clause 0x1
	global_load_dwordx2 v[55:56], v56, s[0:1] offset:416
	global_load_dwordx2 v[53:54], v[1:2], off offset:416
	v_add_co_ci_u32_e64 v4, null, s1, 0, s2
	v_add_co_u32 v1, s2, s0, v107
	v_add_co_ci_u32_e64 v2, null, s1, 0, s2
	s_clause 0x1
	global_load_dwordx2 v[51:52], v[3:4], off offset:416
	global_load_dwordx2 v[49:50], v[1:2], off offset:416
	ds_read2_b32 v[1:2], v73 offset1:117
	ds_read2_b32 v[3:4], v64 offset0:84 offset1:201
	ds_read2_b32 v[5:6], v63 offset0:18 offset1:135
	;; [unrolled: 1-line block ×5, first 2 shown]
	v_lshlrev_b32_sdwa v107, v57, v62 dst_sel:DWORD dst_unused:UNUSED_PAD src0_sel:DWORD src1_sel:WORD_0
	v_lshlrev_b32_sdwa v111, v57, v68 dst_sel:DWORD dst_unused:UNUSED_PAD src0_sel:DWORD src1_sel:WORD_0
	ds_read2_b32 v[61:62], v66 offset0:40 offset1:157
	ds_read_b32 v68, v73 offset:6552
	v_lshlrev_b32_sdwa v112, v57, v69 dst_sel:DWORD dst_unused:UNUSED_PAD src0_sel:DWORD src1_sel:WORD_0
	v_add_nc_u32_e32 v57, 0xa00, v107
	v_lshlrev_b32_e32 v11, 4, v85
	v_add_nc_u32_e32 v69, 0x1000, v111
	s_waitcnt vmcnt(0) lgkmcnt(0)
	v_add_nc_u32_e32 v70, 0x1400, v112
	s_barrier
	buffer_gl0_inv
	v_lshrrev_b32_e32 v72, 16, v1
	v_lshrrev_b32_e32 v115, 16, v4
	;; [unrolled: 1-line block ×15, first 2 shown]
	v_mul_f16_sdwa v129, v115, v55 dst_sel:DWORD dst_unused:UNUSED_PAD src0_sel:DWORD src1_sel:WORD_1
	v_mul_f16_sdwa v130, v4, v55 dst_sel:DWORD dst_unused:UNUSED_PAD src0_sel:DWORD src1_sel:WORD_1
	;; [unrolled: 1-line block ×20, first 2 shown]
	v_fma_f16 v4, v4, v55, -v129
	v_fmac_f16_e32 v130, v115, v55
	v_fma_f16 v5, v5, v56, -v131
	v_fmac_f16_e32 v132, v116, v56
	;; [unrolled: 2-line block ×10, first 2 shown]
	v_add_f16_e32 v116, v4, v5
	v_add_f16_e32 v121, v130, v132
	;; [unrolled: 1-line block ×4, first 2 shown]
	v_sub_f16_e32 v118, v130, v132
	v_add_f16_e32 v119, v72, v130
	v_sub_f16_e32 v125, v134, v136
	v_add_f16_e32 v127, v117, v134
	v_add_f16_e32 v130, v8, v59
	;; [unrolled: 1-line block ×4, first 2 shown]
	v_sub_f16_e32 v4, v4, v5
	v_add_f16_e32 v122, v2, v7
	v_sub_f16_e32 v131, v138, v140
	v_add_f16_e32 v133, v120, v138
	v_add_f16_e32 v137, v61, v60
	v_sub_f16_e32 v138, v142, v144
	v_add_f16_e32 v139, v123, v142
	v_add_f16_e32 v141, v142, v144
	;; [unrolled: 1-line block ×4, first 2 shown]
	v_sub_f16_e32 v145, v146, v148
	v_add_f16_e32 v147, v126, v146
	v_add_f16_e32 v146, v146, v148
	v_fma_f16 v1, -0.5, v116, v1
	v_fmac_f16_e32 v72, -0.5, v121
	v_sub_f16_e32 v7, v7, v6
	v_fmac_f16_e32 v2, -0.5, v124
	v_fmac_f16_e32 v117, -0.5, v128
	v_add_f16_e32 v129, v9, v8
	v_sub_f16_e32 v8, v8, v59
	v_fma_f16 v9, -0.5, v130, v9
	v_fmac_f16_e32 v120, -0.5, v134
	v_add_f16_e32 v135, v10, v61
	v_sub_f16_e32 v61, v61, v60
	v_sub_f16_e32 v62, v62, v68
	v_add_f16_e32 v5, v115, v5
	v_add_f16_e32 v115, v119, v132
	;; [unrolled: 1-line block ×3, first 2 shown]
	v_fmac_f16_e32 v10, -0.5, v137
	v_fmac_f16_e32 v123, -0.5, v141
	v_add_f16_e32 v68, v142, v68
	v_fmac_f16_e32 v3, -0.5, v143
	v_add_f16_e32 v122, v147, v148
	v_fmac_f16_e32 v126, -0.5, v146
	v_fmamk_f16 v124, v118, 0x3aee, v1
	v_fmac_f16_e32 v1, 0xbaee, v118
	v_fmamk_f16 v118, v4, 0xbaee, v72
	v_add_f16_e32 v116, v127, v136
	v_fmac_f16_e32 v72, 0x3aee, v4
	v_fmamk_f16 v4, v125, 0x3aee, v2
	v_fmac_f16_e32 v2, 0xbaee, v125
	v_fmamk_f16 v125, v7, 0xbaee, v117
	v_fmac_f16_e32 v117, 0x3aee, v7
	v_add_f16_e32 v59, v129, v59
	v_add_f16_e32 v119, v133, v140
	v_fmamk_f16 v7, v131, 0x3aee, v9
	v_fmamk_f16 v127, v8, 0xbaee, v120
	v_fmac_f16_e32 v9, 0xbaee, v131
	v_fmac_f16_e32 v120, 0x3aee, v8
	v_add_f16_e32 v60, v135, v60
	v_add_f16_e32 v121, v139, v144
	v_fmamk_f16 v8, v138, 0x3aee, v10
	v_fmac_f16_e32 v10, 0xbaee, v138
	v_fmamk_f16 v128, v61, 0xbaee, v123
	v_fmac_f16_e32 v123, 0x3aee, v61
	;; [unrolled: 2-line block ×4, first 2 shown]
	v_pack_b32_f16 v5, v5, v115
	v_pack_b32_f16 v62, v68, v122
	;; [unrolled: 1-line block ×15, first 2 shown]
	ds_write2_b32 v73, v5, v68 offset1:117
	ds_write2_b32 v67, v1, v6 offset0:106 offset1:223
	ds_write2_b32 v64, v4, v2 offset0:84 offset1:201
	;; [unrolled: 1-line block ×3, first 2 shown]
	ds_write_b32 v107, v9 offset:3744
	ds_write2_b32 v69, v60, v8 offset0:29 offset1:146
	ds_write_b32 v111, v10 offset:5148
	ds_write2_b32 v70, v62, v61 offset0:124 offset1:241
	ds_write_b32 v112, v3 offset:6552
	v_lshlrev_b32_e32 v1, 4, v58
	s_waitcnt lgkmcnt(0)
	s_barrier
	buffer_gl0_inv
	s_clause 0x2
	global_load_dwordx4 v[8:11], v11, s[0:1] offset:1352
	global_load_dwordx4 v[4:7], v1, s[0:1] offset:1352
	;; [unrolled: 1-line block ×3, first 2 shown]
	ds_read2_b32 v[61:62], v73 offset1:117
	ds_read2_b32 v[57:58], v67 offset0:106 offset1:223
	ds_read2_b32 v[68:69], v65 offset0:62 offset1:179
	;; [unrolled: 1-line block ×6, first 2 shown]
	ds_read_b32 v70, v73 offset:6552
	v_add_co_u32 v59, s0, 0x1b6c, v18
	v_add_co_ci_u32_e64 v60, s0, 0, v19, s0
	s_waitcnt lgkmcnt(7)
	v_lshrrev_b32_e32 v72, 16, v61
	s_waitcnt lgkmcnt(6)
	v_lshrrev_b32_e32 v124, 16, v58
	;; [unrolled: 2-line block ×6, first 2 shown]
	v_lshrrev_b32_e32 v130, 16, v69
	s_waitcnt lgkmcnt(1)
	v_lshrrev_b32_e32 v131, 16, v122
	v_lshrrev_b32_e32 v132, 16, v119
	;; [unrolled: 1-line block ×5, first 2 shown]
	s_waitcnt lgkmcnt(0)
	v_lshrrev_b32_e32 v136, 16, v70
	v_lshrrev_b32_e32 v128, 16, v62
	;; [unrolled: 1-line block ×3, first 2 shown]
	s_waitcnt vmcnt(2)
	v_mul_f16_sdwa v137, v124, v8 dst_sel:DWORD dst_unused:UNUSED_PAD src0_sel:DWORD src1_sel:WORD_1
	v_mul_f16_sdwa v138, v58, v8 dst_sel:DWORD dst_unused:UNUSED_PAD src0_sel:DWORD src1_sel:WORD_1
	v_mul_f16_sdwa v139, v125, v9 dst_sel:DWORD dst_unused:UNUSED_PAD src0_sel:DWORD src1_sel:WORD_1
	v_mul_f16_sdwa v140, v68, v9 dst_sel:DWORD dst_unused:UNUSED_PAD src0_sel:DWORD src1_sel:WORD_1
	v_mul_f16_sdwa v141, v126, v10 dst_sel:DWORD dst_unused:UNUSED_PAD src0_sel:DWORD src1_sel:WORD_1
	v_mul_f16_sdwa v142, v117, v10 dst_sel:DWORD dst_unused:UNUSED_PAD src0_sel:DWORD src1_sel:WORD_1
	v_mul_f16_sdwa v143, v127, v11 dst_sel:DWORD dst_unused:UNUSED_PAD src0_sel:DWORD src1_sel:WORD_1
	v_mul_f16_sdwa v144, v118, v11 dst_sel:DWORD dst_unused:UNUSED_PAD src0_sel:DWORD src1_sel:WORD_1
	s_waitcnt vmcnt(1)
	v_mul_f16_sdwa v145, v129, v4 dst_sel:DWORD dst_unused:UNUSED_PAD src0_sel:DWORD src1_sel:WORD_1
	v_mul_f16_sdwa v146, v120, v4 dst_sel:DWORD dst_unused:UNUSED_PAD src0_sel:DWORD src1_sel:WORD_1
	v_mul_f16_sdwa v147, v130, v5 dst_sel:DWORD dst_unused:UNUSED_PAD src0_sel:DWORD src1_sel:WORD_1
	v_mul_f16_sdwa v148, v69, v5 dst_sel:DWORD dst_unused:UNUSED_PAD src0_sel:DWORD src1_sel:WORD_1
	v_mul_f16_sdwa v149, v131, v6 dst_sel:DWORD dst_unused:UNUSED_PAD src0_sel:DWORD src1_sel:WORD_1
	v_mul_f16_sdwa v150, v122, v6 dst_sel:DWORD dst_unused:UNUSED_PAD src0_sel:DWORD src1_sel:WORD_1
	v_mul_f16_sdwa v151, v132, v7 dst_sel:DWORD dst_unused:UNUSED_PAD src0_sel:DWORD src1_sel:WORD_1
	v_mul_f16_sdwa v152, v119, v7 dst_sel:DWORD dst_unused:UNUSED_PAD src0_sel:DWORD src1_sel:WORD_1
	;; [unrolled: 9-line block ×3, first 2 shown]
	v_fma_f16 v58, v58, v8, -v137
	v_fmac_f16_e32 v138, v124, v8
	v_fma_f16 v68, v68, v9, -v139
	v_fmac_f16_e32 v140, v125, v9
	;; [unrolled: 2-line block ×12, first 2 shown]
	v_add_f16_e32 v124, v61, v58
	v_add_f16_e32 v125, v68, v117
	v_sub_f16_e32 v129, v58, v68
	v_sub_f16_e32 v130, v118, v117
	v_add_f16_e32 v131, v58, v118
	v_sub_f16_e32 v132, v68, v58
	v_sub_f16_e32 v133, v117, v118
	v_add_f16_e32 v134, v72, v138
	v_add_f16_e32 v135, v140, v142
	v_sub_f16_e32 v136, v58, v118
	v_sub_f16_e32 v58, v138, v140
	;; [unrolled: 1-line block ×3, first 2 shown]
	v_add_f16_e32 v141, v138, v144
	v_add_f16_e32 v145, v62, v120
	v_add_f16_e32 v147, v69, v122
	v_add_f16_e32 v157, v120, v119
	v_add_f16_e32 v162, v128, v146
	v_add_f16_e32 v163, v148, v150
	v_add_f16_e32 v167, v146, v152
	v_add_f16_e32 v169, v57, v121
	v_add_f16_e32 v170, v116, v123
	v_add_f16_e32 v178, v115, v154
	v_add_f16_e32 v179, v156, v158
	v_add_f16_e32 v175, v121, v70
	v_add_f16_e32 v183, v154, v160
	v_sub_f16_e32 v126, v138, v144
	v_sub_f16_e32 v127, v140, v142
	;; [unrolled: 1-line block ×11, first 2 shown]
	v_add_f16_e32 v68, v124, v68
	v_fma_f16 v124, -0.5, v125, v61
	v_add_f16_e32 v125, v129, v130
	v_fma_f16 v61, -0.5, v131, v61
	v_add_f16_e32 v129, v132, v133
	v_add_f16_e32 v130, v134, v140
	v_fma_f16 v131, -0.5, v135, v72
	v_add_f16_e32 v132, v58, v139
	v_fmac_f16_e32 v72, -0.5, v141
	v_add_f16_e32 v69, v145, v69
	v_fma_f16 v134, -0.5, v147, v62
	v_fmac_f16_e32 v62, -0.5, v157
	v_add_f16_e32 v139, v162, v148
	v_fma_f16 v140, -0.5, v163, v128
	v_fmac_f16_e32 v128, -0.5, v167
	v_sub_f16_e32 v149, v146, v152
	v_sub_f16_e32 v120, v120, v119
	;; [unrolled: 1-line block ×9, first 2 shown]
	v_add_f16_e32 v145, v169, v116
	v_fma_f16 v58, -0.5, v170, v57
	v_add_f16_e32 v148, v178, v156
	v_fma_f16 v116, -0.5, v179, v115
	v_sub_f16_e32 v172, v156, v158
	v_fmac_f16_e32 v57, -0.5, v175
	v_fmac_f16_e32 v115, -0.5, v183
	v_sub_f16_e32 v168, v150, v152
	v_sub_f16_e32 v181, v154, v156
	;; [unrolled: 1-line block ×3, first 2 shown]
	v_add_f16_e32 v133, v138, v143
	v_add_f16_e32 v135, v153, v155
	;; [unrolled: 1-line block ×4, first 2 shown]
	v_fmamk_f16 v155, v127, 0xbb9c, v61
	v_add_f16_e32 v130, v130, v142
	v_fmamk_f16 v156, v137, 0x3b9c, v72
	v_add_f16_e32 v69, v69, v122
	;; [unrolled: 2-line block ×3, first 2 shown]
	v_fmamk_f16 v159, v164, 0x3b9c, v128
	v_sub_f16_e32 v166, v152, v150
	v_fmamk_f16 v117, v126, 0x3b9c, v124
	v_fmac_f16_e32 v124, 0xbb9c, v126
	v_fmac_f16_e32 v61, 0x3b9c, v127
	v_fmamk_f16 v142, v136, 0xbb9c, v131
	v_fmac_f16_e32 v131, 0x3b9c, v136
	v_fmac_f16_e32 v72, 0xbb9c, v137
	v_fmamk_f16 v122, v149, 0x3b9c, v134
	v_fmac_f16_e32 v134, 0xbb9c, v149
	v_fmamk_f16 v150, v120, 0xbb9c, v140
	v_fmac_f16_e32 v140, 0x3b9c, v120
	v_sub_f16_e32 v174, v70, v123
	v_sub_f16_e32 v177, v123, v70
	;; [unrolled: 1-line block ×4, first 2 shown]
	v_add_f16_e32 v123, v145, v123
	v_fmamk_f16 v145, v171, 0x3b9c, v58
	v_add_f16_e32 v148, v148, v158
	v_fmamk_f16 v158, v121, 0xbb9c, v116
	v_fmamk_f16 v161, v172, 0xbb9c, v57
	v_fmamk_f16 v162, v180, 0x3b9c, v115
	v_add_f16_e32 v143, v146, v168
	v_fmac_f16_e32 v62, 0x3b9c, v151
	v_fmac_f16_e32 v128, 0xbb9c, v164
	;; [unrolled: 1-line block ×6, first 2 shown]
	v_add_f16_e32 v68, v68, v118
	v_fmac_f16_e32 v155, 0x38b4, v126
	v_add_f16_e32 v118, v130, v144
	v_fmac_f16_e32 v156, 0xb8b4, v136
	;; [unrolled: 2-line block ×5, first 2 shown]
	v_fmac_f16_e32 v61, 0xb8b4, v126
	v_fmac_f16_e32 v131, 0x38b4, v137
	;; [unrolled: 1-line block ×7, first 2 shown]
	v_add_f16_e32 v146, v173, v174
	v_add_f16_e32 v153, v181, v182
	v_fmac_f16_e32 v122, 0x38b4, v151
	v_fmac_f16_e32 v150, 0xb8b4, v164
	;; [unrolled: 1-line block ×4, first 2 shown]
	v_add_f16_e32 v147, v176, v177
	v_add_f16_e32 v154, v154, v184
	v_fmac_f16_e32 v161, 0x38b4, v171
	v_fmac_f16_e32 v162, 0xb8b4, v121
	;; [unrolled: 1-line block ×12, first 2 shown]
	v_pack_b32_f16 v68, v68, v118
	v_pack_b32_f16 v69, v69, v119
	v_fmac_f16_e32 v124, 0x34f2, v125
	v_fmac_f16_e32 v61, 0x34f2, v129
	v_fmac_f16_e32 v131, 0x34f2, v132
	v_fmac_f16_e32 v72, 0x34f2, v133
	v_fmac_f16_e32 v134, 0x34f2, v135
	v_fmac_f16_e32 v140, 0x34f2, v141
	v_add_f16_e32 v70, v123, v70
	v_add_f16_e32 v120, v148, v160
	v_fmac_f16_e32 v117, 0x34f2, v125
	v_fmac_f16_e32 v142, 0x34f2, v132
	;; [unrolled: 1-line block ×14, first 2 shown]
	v_pack_b32_f16 v118, v155, v156
	ds_write2_b32 v73, v68, v69 offset1:117
	v_pack_b32_f16 v69, v157, v159
	v_pack_b32_f16 v61, v61, v72
	v_pack_b32_f16 v72, v124, v131
	v_pack_b32_f16 v119, v134, v140
	v_pack_b32_f16 v70, v70, v120
	v_pack_b32_f16 v117, v117, v142
	v_pack_b32_f16 v68, v122, v150
	v_pack_b32_f16 v120, v145, v158
	v_pack_b32_f16 v121, v161, v162
	v_pack_b32_f16 v62, v62, v128
	v_pack_b32_f16 v122, v57, v115
	v_pack_b32_f16 v123, v58, v116
	ds_write2_b32 v65, v118, v69 offset0:62 offset1:179
	ds_write2_b32 v71, v72, v119 offset0:124 offset1:241
	;; [unrolled: 1-line block ×6, first 2 shown]
	ds_write_b32 v73, v123 offset:6552
	s_waitcnt lgkmcnt(0)
	s_barrier
	buffer_gl0_inv
	s_clause 0x1
	global_load_dword v69, v[12:13], off offset:876
	global_load_dword v70, v[59:60], off offset:540
	v_add_co_u32 v61, s0, 0x2000, v18
	v_add_co_ci_u32_e64 v62, s0, 0, v19, s0
	v_add_co_u32 v67, s0, 0x2800, v18
	v_add_co_ci_u32_e64 v68, s0, 0, v19, s0
	s_clause 0x5
	global_load_dword v124, v[59:60], off offset:1080
	global_load_dword v125, v[59:60], off offset:1620
	;; [unrolled: 1-line block ×6, first 2 shown]
	v_add_co_u32 v61, s0, 0x3000, v18
	v_add_co_ci_u32_e64 v62, s0, 0, v19, s0
	s_clause 0x4
	global_load_dword v130, v[67:68], off offset:1100
	global_load_dword v131, v[67:68], off offset:1640
	;; [unrolled: 1-line block ×5, first 2 shown]
	ds_read2_b32 v[61:62], v73 offset1:135
	s_waitcnt lgkmcnt(0)
	v_lshrrev_b32_e32 v67, 16, v61
	v_lshrrev_b32_e32 v68, 16, v62
	s_waitcnt vmcnt(12)
	v_mul_f16_sdwa v72, v67, v69 dst_sel:DWORD dst_unused:UNUSED_PAD src0_sel:DWORD src1_sel:WORD_1
	v_mul_f16_sdwa v117, v61, v69 dst_sel:DWORD dst_unused:UNUSED_PAD src0_sel:DWORD src1_sel:WORD_1
	s_waitcnt vmcnt(11)
	v_mul_f16_sdwa v118, v68, v70 dst_sel:DWORD dst_unused:UNUSED_PAD src0_sel:DWORD src1_sel:WORD_1
	v_mul_f16_sdwa v119, v62, v70 dst_sel:DWORD dst_unused:UNUSED_PAD src0_sel:DWORD src1_sel:WORD_1
	v_fma_f16 v61, v61, v69, -v72
	v_fmac_f16_e32 v117, v67, v69
	v_fma_f16 v62, v62, v70, -v118
	v_fmac_f16_e32 v119, v68, v70
	v_add_nc_u32_e32 v67, 0x400, v73
	v_add_nc_u32_e32 v68, 0x800, v73
	v_pack_b32_f16 v61, v61, v117
	v_add_nc_u32_e32 v72, 0xc00, v73
	v_pack_b32_f16 v62, v62, v119
	v_add_nc_u32_e32 v117, 0x1000, v73
	ds_write2_b32 v73, v61, v62 offset1:135
	ds_read2_b32 v[61:62], v67 offset0:14 offset1:149
	ds_read2_b32 v[69:70], v68 offset0:28 offset1:163
	;; [unrolled: 1-line block ×5, first 2 shown]
	ds_read_b32 v135, v73 offset:6480
	s_waitcnt lgkmcnt(3)
	v_lshrrev_b32_e32 v144, 16, v118
	v_lshrrev_b32_e32 v136, 16, v61
	s_waitcnt vmcnt(10)
	v_mul_f16_sdwa v137, v61, v124 dst_sel:DWORD dst_unused:UNUSED_PAD src0_sel:DWORD src1_sel:WORD_1
	v_lshrrev_b32_e32 v138, 16, v62
	s_waitcnt vmcnt(9)
	v_mul_f16_sdwa v139, v62, v125 dst_sel:DWORD dst_unused:UNUSED_PAD src0_sel:DWORD src1_sel:WORD_1
	;; [unrolled: 3-line block ×4, first 2 shown]
	s_waitcnt vmcnt(6)
	v_mul_f16_sdwa v145, v118, v128 dst_sel:DWORD dst_unused:UNUSED_PAD src0_sel:DWORD src1_sel:WORD_1
	v_lshrrev_b32_e32 v146, 16, v119
	s_waitcnt vmcnt(5)
	v_mul_f16_sdwa v147, v119, v129 dst_sel:DWORD dst_unused:UNUSED_PAD src0_sel:DWORD src1_sel:WORD_1
	s_waitcnt lgkmcnt(2)
	v_lshrrev_b32_e32 v148, 16, v120
	s_waitcnt vmcnt(4)
	v_mul_f16_sdwa v149, v120, v130 dst_sel:DWORD dst_unused:UNUSED_PAD src0_sel:DWORD src1_sel:WORD_1
	v_lshrrev_b32_e32 v150, 16, v121
	s_waitcnt vmcnt(3)
	v_mul_f16_sdwa v151, v121, v131 dst_sel:DWORD dst_unused:UNUSED_PAD src0_sel:DWORD src1_sel:WORD_1
	s_waitcnt lgkmcnt(1)
	v_lshrrev_b32_e32 v152, 16, v122
	;; [unrolled: 7-line block ×3, first 2 shown]
	v_mul_f16_sdwa v158, v136, v124 dst_sel:DWORD dst_unused:UNUSED_PAD src0_sel:DWORD src1_sel:WORD_1
	v_fmac_f16_e32 v137, v136, v124
	v_mul_f16_sdwa v136, v138, v125 dst_sel:DWORD dst_unused:UNUSED_PAD src0_sel:DWORD src1_sel:WORD_1
	v_fmac_f16_e32 v139, v138, v125
	;; [unrolled: 2-line block ×9, first 2 shown]
	v_mul_f16_sdwa v152, v154, v133 dst_sel:DWORD dst_unused:UNUSED_PAD src0_sel:DWORD src1_sel:WORD_1
	s_waitcnt vmcnt(0)
	v_mul_f16_sdwa v157, v135, v134 dst_sel:DWORD dst_unused:UNUSED_PAD src0_sel:DWORD src1_sel:WORD_1
	v_fmac_f16_e32 v155, v154, v133
	v_mul_f16_sdwa v154, v156, v134 dst_sel:DWORD dst_unused:UNUSED_PAD src0_sel:DWORD src1_sel:WORD_1
	v_fma_f16 v61, v61, v124, -v158
	v_fma_f16 v62, v62, v125, -v136
	;; [unrolled: 1-line block ×10, first 2 shown]
	v_fmac_f16_e32 v157, v156, v134
	v_fma_f16 v124, v135, v134, -v154
	v_pack_b32_f16 v61, v61, v137
	v_pack_b32_f16 v62, v62, v139
	;; [unrolled: 1-line block ×11, first 2 shown]
	ds_write2_b32 v67, v61, v62 offset0:14 offset1:149
	ds_write2_b32 v68, v69, v70 offset0:28 offset1:163
	;; [unrolled: 1-line block ×5, first 2 shown]
	ds_write_b32 v73, v124 offset:6480
	s_and_saveexec_b32 s1, vcc_lo
	s_cbranch_execz .LBB0_9
; %bb.8:
	s_clause 0x1
	global_load_dword v118, v[59:60], off offset:468
	global_load_dword v119, v[59:60], off offset:1008
	v_add_co_u32 v61, s0, 0x800, v59
	v_add_co_ci_u32_e64 v62, s0, 0, v60, s0
	v_add_co_u32 v69, s0, 0x1000, v59
	v_add_co_ci_u32_e64 v70, s0, 0, v60, s0
	s_clause 0x1
	global_load_dword v122, v[59:60], off offset:1548
	global_load_dword v123, v[61:62], off offset:40
	v_add_co_u32 v59, s0, 0x1800, v59
	s_clause 0x4
	global_load_dword v124, v[61:62], off offset:580
	global_load_dword v125, v[61:62], off offset:1120
	;; [unrolled: 1-line block ×5, first 2 shown]
	v_add_co_ci_u32_e64 v60, s0, 0, v60, s0
	s_clause 0x3
	global_load_dword v129, v[69:70], off offset:1232
	global_load_dword v130, v[69:70], off offset:1772
	;; [unrolled: 1-line block ×4, first 2 shown]
	ds_read2_b32 v[59:60], v73 offset0:117 offset1:252
	v_add_nc_u32_e32 v133, 0x1600, v73
	s_waitcnt lgkmcnt(0)
	v_lshrrev_b32_e32 v61, 16, v59
	v_lshrrev_b32_e32 v62, 16, v60
	s_waitcnt vmcnt(12)
	v_mul_f16_sdwa v69, v61, v118 dst_sel:DWORD dst_unused:UNUSED_PAD src0_sel:DWORD src1_sel:WORD_1
	v_mul_f16_sdwa v70, v59, v118 dst_sel:DWORD dst_unused:UNUSED_PAD src0_sel:DWORD src1_sel:WORD_1
	s_waitcnt vmcnt(11)
	v_mul_f16_sdwa v120, v62, v119 dst_sel:DWORD dst_unused:UNUSED_PAD src0_sel:DWORD src1_sel:WORD_1
	v_mul_f16_sdwa v121, v60, v119 dst_sel:DWORD dst_unused:UNUSED_PAD src0_sel:DWORD src1_sel:WORD_1
	v_fma_f16 v59, v59, v118, -v69
	v_fmac_f16_e32 v70, v61, v118
	v_fma_f16 v60, v60, v119, -v120
	v_fmac_f16_e32 v121, v62, v119
	v_pack_b32_f16 v59, v59, v70
	v_pack_b32_f16 v60, v60, v121
	ds_write2_b32 v73, v59, v60 offset0:117 offset1:252
	ds_read2_b32 v[59:60], v64 offset0:3 offset1:138
	ds_read2_b32 v[61:62], v65 offset0:17 offset1:152
	;; [unrolled: 1-line block ×5, first 2 shown]
	ds_read_b32 v134, v73 offset:6948
	s_waitcnt lgkmcnt(5)
	v_lshrrev_b32_e32 v135, 16, v59
	s_waitcnt vmcnt(10)
	v_mul_f16_sdwa v136, v59, v122 dst_sel:DWORD dst_unused:UNUSED_PAD src0_sel:DWORD src1_sel:WORD_1
	v_lshrrev_b32_e32 v137, 16, v60
	s_waitcnt vmcnt(9)
	v_mul_f16_sdwa v138, v60, v123 dst_sel:DWORD dst_unused:UNUSED_PAD src0_sel:DWORD src1_sel:WORD_1
	s_waitcnt lgkmcnt(4)
	v_lshrrev_b32_e32 v139, 16, v61
	s_waitcnt vmcnt(8)
	v_mul_f16_sdwa v140, v61, v124 dst_sel:DWORD dst_unused:UNUSED_PAD src0_sel:DWORD src1_sel:WORD_1
	v_lshrrev_b32_e32 v141, 16, v62
	s_waitcnt vmcnt(7)
	v_mul_f16_sdwa v142, v62, v125 dst_sel:DWORD dst_unused:UNUSED_PAD src0_sel:DWORD src1_sel:WORD_1
	;; [unrolled: 7-line block ×5, first 2 shown]
	s_waitcnt lgkmcnt(0)
	v_lshrrev_b32_e32 v155, 16, v134
	v_mul_f16_sdwa v157, v135, v122 dst_sel:DWORD dst_unused:UNUSED_PAD src0_sel:DWORD src1_sel:WORD_1
	v_fmac_f16_e32 v136, v135, v122
	v_mul_f16_sdwa v135, v137, v123 dst_sel:DWORD dst_unused:UNUSED_PAD src0_sel:DWORD src1_sel:WORD_1
	v_fmac_f16_e32 v138, v137, v123
	;; [unrolled: 2-line block ×9, first 2 shown]
	v_mul_f16_sdwa v151, v153, v131 dst_sel:DWORD dst_unused:UNUSED_PAD src0_sel:DWORD src1_sel:WORD_1
	s_waitcnt vmcnt(0)
	v_mul_f16_sdwa v156, v134, v132 dst_sel:DWORD dst_unused:UNUSED_PAD src0_sel:DWORD src1_sel:WORD_1
	v_fmac_f16_e32 v154, v153, v131
	v_mul_f16_sdwa v153, v155, v132 dst_sel:DWORD dst_unused:UNUSED_PAD src0_sel:DWORD src1_sel:WORD_1
	v_fma_f16 v59, v59, v122, -v157
	v_fma_f16 v60, v60, v123, -v135
	;; [unrolled: 1-line block ×10, first 2 shown]
	v_fmac_f16_e32 v156, v155, v132
	v_fma_f16 v122, v134, v132, -v153
	v_pack_b32_f16 v59, v59, v136
	v_pack_b32_f16 v60, v60, v138
	;; [unrolled: 1-line block ×11, first 2 shown]
	ds_write2_b32 v64, v59, v60 offset0:3 offset1:138
	ds_write2_b32 v65, v61, v62 offset0:17 offset1:152
	;; [unrolled: 1-line block ×5, first 2 shown]
	ds_write_b32 v73, v122 offset:6948
.LBB0_9:
	s_or_b32 exec_lo, exec_lo, s1
	s_waitcnt lgkmcnt(0)
	s_barrier
	buffer_gl0_inv
	ds_read2_b32 v[61:62], v73 offset1:135
	ds_read2_b32 v[69:70], v67 offset0:14 offset1:149
	ds_read2_b32 v[65:66], v68 offset0:28 offset1:163
	;; [unrolled: 1-line block ×5, first 2 shown]
	ds_read_b32 v119, v73 offset:6480
	v_lshrrev_b32_e32 v60, 16, v106
	s_and_saveexec_b32 s0, vcc_lo
	s_cbranch_execz .LBB0_11
; %bb.10:
	v_add_nc_u32_e32 v21, 0x600, v73
	v_add_nc_u32_e32 v22, 0xa00, v73
	;; [unrolled: 1-line block ×3, first 2 shown]
	ds_read2_b32 v[57:58], v73 offset0:117 offset1:252
	ds_read2_b32 v[23:24], v21 offset0:3 offset1:138
	v_add_nc_u32_e32 v21, 0x1200, v73
	ds_read2_b32 v[25:26], v22 offset0:17 offset1:152
	v_add_nc_u32_e32 v22, 0x1600, v73
	ds_read2_b32 v[59:60], v27 offset0:31 offset1:166
	ds_read2_b32 v[27:28], v21 offset0:45 offset1:180
	;; [unrolled: 1-line block ×3, first 2 shown]
	ds_read_b32 v90, v73 offset:6948
	s_waitcnt lgkmcnt(6)
	v_lshrrev_b32_e32 v115, 16, v57
	v_lshrrev_b32_e32 v116, 16, v58
	s_waitcnt lgkmcnt(5)
	v_lshrrev_b32_e32 v93, 16, v23
	v_lshrrev_b32_e32 v94, 16, v24
	;; [unrolled: 3-line block ×6, first 2 shown]
	s_waitcnt lgkmcnt(0)
	v_bfi_b32 v102, 0xffff, v59, v90
.LBB0_11:
	s_or_b32 exec_lo, exec_lo, s0
	s_waitcnt lgkmcnt(6)
	v_pk_add_f16 v59, v61, v62
	s_waitcnt lgkmcnt(0)
	v_pk_add_f16 v118, v119, v62
	v_pk_add_f16 v143, v69, v72 neg_lo:[0,1] neg_hi:[0,1]
	v_mov_b32_e32 v121, 0x388b
	v_pk_add_f16 v146, v72, v69
	v_pk_add_f16 v117, v59, v69
	v_pk_add_f16 v59, v62, v119 neg_lo:[0,1] neg_hi:[0,1]
	v_mov_b32_e32 v120, 0xba95
	v_mov_b32_e32 v125, 0xb5ac
	v_mul_f16_sdwa v129, v118, v121 dst_sel:DWORD dst_unused:UNUSED_PAD src0_sel:WORD_1 src1_sel:DWORD
	v_pk_add_f16 v62, v117, v70
	v_pk_mul_f16 v117, 0xb770, v59 op_sel_hi:[0,1]
	v_mov_b32_e32 v123, 0x2fb7
	v_mov_b32_e32 v124, 0xbb7b
	v_mul_f16_sdwa v128, v59, v120 dst_sel:DWORD dst_unused:UNUSED_PAD src0_sel:WORD_1 src1_sel:DWORD
	v_pk_add_f16 v62, v62, v65
	v_fmamk_f16 v136, v59, 0x3a95, v129
	v_mul_f16_sdwa v148, v146, v125 dst_sel:DWORD dst_unused:UNUSED_PAD src0_sel:WORD_1 src1_sel:DWORD
	v_mov_b32_e32 v122, 0xbbf1
	v_mul_f16_sdwa v131, v118, v123 dst_sel:DWORD dst_unused:UNUSED_PAD src0_sel:WORD_1 src1_sel:DWORD
	v_pk_add_f16 v62, v62, v66
	v_fmamk_f16 v135, v118, 0x388b, v128
	v_fma_f16 v128, v118, 0x388b, -v128
	v_fmac_f16_e32 v129, 0xba95, v59
	v_add_f16_sdwa v136, v61, v136 dst_sel:DWORD dst_unused:UNUSED_PAD src0_sel:WORD_1 src1_sel:DWORD
	v_pk_add_f16 v134, v62, v63
	v_pk_fma_f16 v62, 0x3b15, v118, v117 op_sel:[0,0,1] op_sel_hi:[0,1,0]
	v_pk_fma_f16 v117, 0x3b15, v118, v117 op_sel:[0,0,1] op_sel_hi:[0,1,0] neg_lo:[0,0,1] neg_hi:[0,0,1]
	v_mul_f16_sdwa v147, v143, v124 dst_sel:DWORD dst_unused:UNUSED_PAD src0_sel:WORD_1 src1_sel:DWORD
	v_fmamk_f16 v152, v143, 0x3b7b, v148
	v_pk_add_f16 v134, v134, v64
	v_mul_f16_sdwa v130, v59, v122 dst_sel:DWORD dst_unused:UNUSED_PAD src0_sel:WORD_1 src1_sel:DWORD
	v_bfi_b32 v141, 0xffff, v62, v117
	v_mul_f16_sdwa v132, v59, v124 dst_sel:DWORD dst_unused:UNUSED_PAD src0_sel:WORD_1 src1_sel:DWORD
	v_fmamk_f16 v138, v59, 0x3bf1, v131
	v_pk_add_f16 v134, v134, v67
	v_add_f16_e32 v135, v61, v135
	v_pk_add_f16 v141, v61, v141
	v_add_f16_e32 v128, v61, v128
	v_add_f16_sdwa v129, v61, v129 dst_sel:DWORD dst_unused:UNUSED_PAD src0_sel:WORD_1 src1_sel:DWORD
	v_pk_add_f16 v134, v134, v68
	v_fmamk_f16 v150, v146, 0xb5ac, v147
	v_mov_b32_e32 v151, 0xb3a8
	v_add_f16_e32 v136, v152, v136
	v_fma_f16 v147, v146, 0xb5ac, -v147
	v_pk_add_f16 v134, v134, v71
	v_fmac_f16_e32 v148, 0xbb7b, v143
	v_mov_b32_e32 v154, 0x394e
	v_mul_f16_sdwa v133, v118, v125 dst_sel:DWORD dst_unused:UNUSED_PAD src0_sel:WORD_1 src1_sel:DWORD
	v_fmamk_f16 v137, v118, 0x2fb7, v130
	v_pk_add_f16 v134, v134, v72
	v_pk_mul_f16 v72, 0xba95, v143 op_sel_hi:[0,1]
	v_fmamk_f16 v139, v118, 0xb5ac, v132
	v_add_f16_sdwa v138, v61, v138 dst_sel:DWORD dst_unused:UNUSED_PAD src0_sel:WORD_1 src1_sel:DWORD
	v_add_f16_e32 v135, v150, v135
	v_mul_f16_sdwa v150, v143, v151 dst_sel:DWORD dst_unused:UNUSED_PAD src0_sel:WORD_1 src1_sel:DWORD
	v_pk_fma_f16 v69, 0x388b, v146, v72 op_sel:[0,0,1] op_sel_hi:[0,1,0]
	v_pk_fma_f16 v72, 0x388b, v146, v72 op_sel:[0,0,1] op_sel_hi:[0,1,0] neg_lo:[0,0,1] neg_hi:[0,0,1]
	v_add_f16_e32 v128, v147, v128
	v_add_f16_e32 v129, v148, v129
	v_mul_f16_sdwa v148, v143, v154 dst_sel:DWORD dst_unused:UNUSED_PAD src0_sel:WORD_1 src1_sel:DWORD
	v_mov_b32_e32 v126, 0xb94e
	v_bfi_b32 v149, 0xffff, v69, v72
	v_mov_b32_e32 v127, 0xb9fd
	v_fma_f16 v130, v118, 0x2fb7, -v130
	v_fmamk_f16 v140, v59, 0x3b7b, v133
	v_fma_f16 v132, v118, 0xb5ac, -v132
	v_pk_add_f16 v141, v149, v141
	v_mov_b32_e32 v149, 0xbbc4
	v_add_f16_e32 v137, v61, v137
	v_add_f16_e32 v139, v61, v139
	v_fmamk_f16 v153, v146, 0xbbc4, v150
	v_fmac_f16_e32 v131, 0xbbf1, v59
	v_mul_f16_sdwa v152, v146, v149 dst_sel:DWORD dst_unused:UNUSED_PAD src0_sel:WORD_1 src1_sel:DWORD
	v_add_f16_e32 v130, v61, v130
	v_pk_add_f16 v119, v134, v119
	v_add_f16_sdwa v134, v61, v140 dst_sel:DWORD dst_unused:UNUSED_PAD src0_sel:WORD_1 src1_sel:DWORD
	v_mul_f16_sdwa v140, v59, v126 dst_sel:DWORD dst_unused:UNUSED_PAD src0_sel:WORD_1 src1_sel:DWORD
	v_fmamk_f16 v147, v143, 0x33a8, v152
	v_add_f16_e32 v132, v61, v132
	v_add_f16_e32 v137, v153, v137
	v_fma_f16 v150, v146, 0xbbc4, -v150
	v_mul_f16_sdwa v153, v146, v127 dst_sel:DWORD dst_unused:UNUSED_PAD src0_sel:WORD_1 src1_sel:DWORD
	v_add_f16_e32 v138, v147, v138
	v_fmamk_f16 v147, v146, 0xb9fd, v148
	v_mov_b32_e32 v155, 0x3bf1
	v_add_f16_sdwa v131, v61, v131 dst_sel:DWORD dst_unused:UNUSED_PAD src0_sel:WORD_1 src1_sel:DWORD
	v_mul_f16_sdwa v142, v118, v127 dst_sel:DWORD dst_unused:UNUSED_PAD src0_sel:WORD_1 src1_sel:DWORD
	v_fmac_f16_e32 v133, 0xbb7b, v59
	v_add_f16_e32 v139, v147, v139
	v_fma_f16 v147, v146, 0xb9fd, -v148
	v_fmamk_f16 v144, v118, 0xb9fd, v140
	v_fma_f16 v140, v118, 0xb9fd, -v140
	v_fmac_f16_e32 v152, 0xb3a8, v143
	v_add_f16_e32 v130, v150, v130
	v_fmamk_f16 v150, v143, 0xb94e, v153
	v_mul_f16_sdwa v148, v143, v155 dst_sel:DWORD dst_unused:UNUSED_PAD src0_sel:WORD_1 src1_sel:DWORD
	v_add_f16_e32 v132, v147, v132
	v_pk_add_f16 v147, v70, v71 neg_lo:[0,1] neg_hi:[0,1]
	v_fmamk_f16 v145, v59, 0x394e, v142
	v_add_f16_sdwa v133, v61, v133 dst_sel:DWORD dst_unused:UNUSED_PAD src0_sel:WORD_1 src1_sel:DWORD
	v_add_f16_e32 v144, v61, v144
	v_fmac_f16_e32 v142, 0xb94e, v59
	v_add_f16_e32 v140, v61, v140
	v_add_f16_e32 v131, v152, v131
	;; [unrolled: 1-line block ×3, first 2 shown]
	v_fmac_f16_e32 v153, 0x394e, v143
	v_mul_f16_sdwa v150, v146, v123 dst_sel:DWORD dst_unused:UNUSED_PAD src0_sel:WORD_1 src1_sel:DWORD
	v_fmamk_f16 v152, v146, 0x2fb7, v148
	v_pk_add_f16 v70, v71, v70
	v_pk_mul_f16 v71, 0xbbf1, v147 op_sel_hi:[0,1]
	v_fma_f16 v148, v146, 0x2fb7, -v148
	v_add_f16_sdwa v145, v61, v145 dst_sel:DWORD dst_unused:UNUSED_PAD src0_sel:WORD_1 src1_sel:DWORD
	v_add_f16_sdwa v142, v61, v142 dst_sel:DWORD dst_unused:UNUSED_PAD src0_sel:WORD_1 src1_sel:DWORD
	v_add_f16_e32 v133, v153, v133
	v_fmamk_f16 v153, v143, 0xbbf1, v150
	v_add_f16_e32 v144, v152, v144
	v_fmac_f16_e32 v150, 0x3bf1, v143
	v_pk_fma_f16 v152, 0x2fb7, v70, v71 op_sel:[0,0,1] op_sel_hi:[0,1,0]
	v_pk_fma_f16 v71, 0x2fb7, v70, v71 op_sel:[0,0,1] op_sel_hi:[0,1,0] neg_lo:[0,0,1] neg_hi:[0,0,1]
	v_add_f16_e32 v140, v148, v140
	v_mul_f16_sdwa v148, v147, v151 dst_sel:DWORD dst_unused:UNUSED_PAD src0_sel:WORD_1 src1_sel:DWORD
	v_mul_f16_sdwa v151, v70, v149 dst_sel:DWORD dst_unused:UNUSED_PAD src0_sel:WORD_1 src1_sel:DWORD
	v_add_f16_e32 v145, v153, v145
	v_add_f16_e32 v142, v150, v142
	v_bfi_b32 v150, 0xffff, v152, v71
	v_mov_b32_e32 v153, 0x3b7b
	v_fmamk_f16 v156, v70, 0xbbc4, v148
	v_fmamk_f16 v157, v147, 0x33a8, v151
	v_fma_f16 v148, v70, 0xbbc4, -v148
	v_pk_add_f16 v141, v150, v141
	v_mul_f16_sdwa v150, v147, v153 dst_sel:DWORD dst_unused:UNUSED_PAD src0_sel:WORD_1 src1_sel:DWORD
	v_add_f16_e32 v135, v156, v135
	v_add_f16_e32 v136, v157, v136
	v_fmac_f16_e32 v151, 0xb3a8, v147
	v_mul_f16_sdwa v156, v70, v125 dst_sel:DWORD dst_unused:UNUSED_PAD src0_sel:WORD_1 src1_sel:DWORD
	v_mov_b32_e32 v157, 0x3b15
	v_add_f16_e32 v128, v148, v128
	v_fmamk_f16 v148, v70, 0xb5ac, v150
	v_mov_b32_e32 v153, 0x3770
	v_add_f16_e32 v129, v151, v129
	v_fmamk_f16 v151, v147, 0xbb7b, v156
	v_mul_f16_sdwa v158, v70, v157 dst_sel:DWORD dst_unused:UNUSED_PAD src0_sel:WORD_1 src1_sel:DWORD
	v_add_f16_e32 v137, v148, v137
	v_mul_f16_sdwa v148, v147, v153 dst_sel:DWORD dst_unused:UNUSED_PAD src0_sel:WORD_1 src1_sel:DWORD
	v_fma_f16 v150, v70, 0xb5ac, -v150
	v_add_f16_e32 v138, v151, v138
	v_fmamk_f16 v151, v147, 0xb770, v158
	v_fmac_f16_e32 v156, 0x3b7b, v147
	v_fmamk_f16 v159, v70, 0x3b15, v148
	v_add_f16_e32 v130, v150, v130
	v_mul_f16_sdwa v150, v147, v120 dst_sel:DWORD dst_unused:UNUSED_PAD src0_sel:WORD_1 src1_sel:DWORD
	v_add_f16_e32 v134, v151, v134
	v_pk_add_f16 v151, v65, v68 neg_lo:[0,1] neg_hi:[0,1]
	v_add_f16_e32 v131, v156, v131
	v_add_f16_e32 v139, v159, v139
	v_fma_f16 v148, v70, 0x3b15, -v148
	v_fmamk_f16 v156, v70, 0x388b, v150
	v_mul_f16_sdwa v159, v70, v121 dst_sel:DWORD dst_unused:UNUSED_PAD src0_sel:WORD_1 src1_sel:DWORD
	v_pk_add_f16 v65, v68, v65
	v_pk_mul_f16 v68, 0xbb7b, v151 op_sel_hi:[0,1]
	v_fmac_f16_e32 v158, 0x3770, v147
	v_add_f16_e32 v132, v148, v132
	v_add_f16_e32 v144, v156, v144
	v_fmamk_f16 v148, v147, 0x3a95, v159
	v_pk_fma_f16 v156, 0xb5ac, v65, v68 op_sel:[0,0,1] op_sel_hi:[0,1,0]
	v_pk_fma_f16 v68, 0xb5ac, v65, v68 op_sel:[0,0,1] op_sel_hi:[0,1,0] neg_lo:[0,0,1] neg_hi:[0,0,1]
	v_mul_f16_sdwa v154, v151, v154 dst_sel:DWORD dst_unused:UNUSED_PAD src0_sel:WORD_1 src1_sel:DWORD
	v_fma_f16 v150, v70, 0x388b, -v150
	v_add_f16_e32 v133, v158, v133
	v_add_f16_e32 v145, v148, v145
	v_bfi_b32 v148, 0xffff, v156, v68
	v_fmamk_f16 v158, v65, 0xb9fd, v154
	v_add_f16_e32 v140, v150, v140
	v_mul_f16_sdwa v150, v65, v127 dst_sel:DWORD dst_unused:UNUSED_PAD src0_sel:WORD_1 src1_sel:DWORD
	v_fmac_f16_e32 v159, 0xba95, v147
	v_pk_add_f16 v141, v148, v141
	v_add_f16_e32 v135, v158, v135
	v_mul_f16_sdwa v148, v151, v153 dst_sel:DWORD dst_unused:UNUSED_PAD src0_sel:WORD_1 src1_sel:DWORD
	v_fmamk_f16 v158, v151, 0xb94e, v150
	v_fmac_f16_e32 v150, 0x394e, v151
	v_add_f16_e32 v142, v159, v142
	v_mul_f16_sdwa v159, v65, v157 dst_sel:DWORD dst_unused:UNUSED_PAD src0_sel:WORD_1 src1_sel:DWORD
	v_fma_f16 v154, v65, 0xb9fd, -v154
	v_fmamk_f16 v160, v65, 0x3b15, v148
	v_add_f16_e32 v129, v150, v129
	v_mul_f16_sdwa v122, v151, v122 dst_sel:DWORD dst_unused:UNUSED_PAD src0_sel:WORD_1 src1_sel:DWORD
	v_mul_f16_sdwa v150, v65, v123 dst_sel:DWORD dst_unused:UNUSED_PAD src0_sel:WORD_1 src1_sel:DWORD
	v_add_f16_e32 v136, v158, v136
	v_fmamk_f16 v158, v151, 0xb770, v159
	v_add_f16_e32 v128, v154, v128
	v_add_f16_e32 v137, v160, v137
	v_fmamk_f16 v154, v65, 0x2fb7, v122
	v_fmamk_f16 v160, v151, 0x3bf1, v150
	v_add_f16_e32 v138, v158, v138
	v_fma_f16 v148, v65, 0x3b15, -v148
	v_mov_b32_e32 v158, 0x33a8
	v_add_f16_e32 v139, v154, v139
	v_add_f16_e32 v134, v160, v134
	v_fma_f16 v122, v65, 0x2fb7, -v122
	v_pk_add_f16 v154, v66, v67 neg_lo:[0,1] neg_hi:[0,1]
	v_fmac_f16_e32 v150, 0xbbf1, v151
	v_mul_f16_sdwa v160, v65, v149 dst_sel:DWORD dst_unused:UNUSED_PAD src0_sel:WORD_1 src1_sel:DWORD
	v_fmac_f16_e32 v159, 0x3770, v151
	v_add_f16_e32 v130, v148, v130
	v_mul_f16_sdwa v148, v151, v158 dst_sel:DWORD dst_unused:UNUSED_PAD src0_sel:WORD_1 src1_sel:DWORD
	v_pk_add_f16 v66, v67, v66
	v_pk_mul_f16 v67, 0xb94e, v154 op_sel_hi:[0,1]
	v_add_f16_e32 v122, v122, v132
	v_add_f16_e32 v132, v150, v133
	v_fmamk_f16 v133, v151, 0xb3a8, v160
	v_add_f16_e32 v131, v159, v131
	v_fmamk_f16 v159, v65, 0xbbc4, v148
	v_pk_fma_f16 v150, 0xb9fd, v66, v67 op_sel:[0,0,1] op_sel_hi:[0,1,0]
	v_pk_fma_f16 v67, 0xb9fd, v66, v67 op_sel:[0,0,1] op_sel_hi:[0,1,0] neg_lo:[0,0,1] neg_hi:[0,0,1]
	v_fma_f16 v148, v65, 0xbbc4, -v148
	v_add_f16_e32 v133, v133, v145
	v_mul_f16_sdwa v145, v154, v155 dst_sel:DWORD dst_unused:UNUSED_PAD src0_sel:WORD_1 src1_sel:DWORD
	v_mul_f16_sdwa v123, v66, v123 dst_sel:DWORD dst_unused:UNUSED_PAD src0_sel:WORD_1 src1_sel:DWORD
	v_bfi_b32 v155, 0xffff, v150, v67
	v_add_f16_e32 v140, v148, v140
	v_mul_f16_sdwa v120, v154, v120 dst_sel:DWORD dst_unused:UNUSED_PAD src0_sel:WORD_1 src1_sel:DWORD
	v_fmamk_f16 v148, v66, 0x2fb7, v145
	v_fma_f16 v145, v66, 0x2fb7, -v145
	v_pk_add_f16 v141, v155, v141
	v_fmamk_f16 v155, v154, 0xbbf1, v123
	v_fmac_f16_e32 v123, 0x3bf1, v154
	v_add_f16_e32 v135, v148, v135
	v_fmamk_f16 v148, v66, 0x388b, v120
	v_add_f16_e32 v128, v145, v128
	v_mul_f16_sdwa v145, v66, v121 dst_sel:DWORD dst_unused:UNUSED_PAD src0_sel:WORD_1 src1_sel:DWORD
	v_add_f16_e32 v123, v123, v129
	v_add_f16_e32 v136, v155, v136
	;; [unrolled: 1-line block ×3, first 2 shown]
	v_mul_f16_sdwa v137, v154, v158 dst_sel:DWORD dst_unused:UNUSED_PAD src0_sel:WORD_1 src1_sel:DWORD
	v_mul_f16_sdwa v148, v66, v149 dst_sel:DWORD dst_unused:UNUSED_PAD src0_sel:WORD_1 src1_sel:DWORD
	v_fmamk_f16 v149, v154, 0x3a95, v145
	v_fma_f16 v120, v66, 0x388b, -v120
	v_fmac_f16_e32 v145, 0xba95, v154
	v_fmamk_f16 v155, v66, 0xbbc4, v137
	v_fmamk_f16 v158, v154, 0xb3a8, v148
	v_add_f16_e32 v138, v149, v138
	v_add_f16_e32 v120, v120, v130
	;; [unrolled: 1-line block ×4, first 2 shown]
	v_mul_f16_sdwa v139, v154, v153 dst_sel:DWORD dst_unused:UNUSED_PAD src0_sel:WORD_1 src1_sel:DWORD
	v_pk_add_f16 v149, v63, v64 neg_lo:[0,1] neg_hi:[0,1]
	v_fmac_f16_e32 v148, 0x33a8, v154
	v_pk_add_f16 v63, v64, v63
	v_fmac_f16_e32 v160, 0x33a8, v151
	v_mul_f16_sdwa v145, v66, v157 dst_sel:DWORD dst_unused:UNUSED_PAD src0_sel:WORD_1 src1_sel:DWORD
	v_fmamk_f16 v155, v66, 0x3b15, v139
	v_add_f16_e32 v132, v148, v132
	v_mul_f16_sdwa v148, v149, v153 dst_sel:DWORD dst_unused:UNUSED_PAD src0_sel:WORD_1 src1_sel:DWORD
	v_fma_f16 v139, v66, 0x3b15, -v139
	v_mul_f16_sdwa v153, v63, v157 dst_sel:DWORD dst_unused:UNUSED_PAD src0_sel:WORD_1 src1_sel:DWORD
	v_add_f16_e32 v142, v160, v142
	v_add_f16_e32 v134, v158, v134
	v_fmamk_f16 v158, v154, 0xb770, v145
	v_fmac_f16_e32 v145, 0x3770, v154
	v_add_f16_e32 v139, v139, v140
	v_fmamk_f16 v140, v149, 0xb770, v153
	v_add_f16_e32 v144, v159, v144
	v_fma_f16 v137, v66, 0xbbc4, -v137
	v_pk_mul_f16 v64, 0xb3a8, v149 op_sel_hi:[0,1]
	v_add_f16_e32 v142, v145, v142
	v_mul_f16_sdwa v126, v149, v126 dst_sel:DWORD dst_unused:UNUSED_PAD src0_sel:WORD_1 src1_sel:DWORD
	v_add_f16_e32 v136, v140, v136
	v_fma_f16 v140, v63, 0x3b15, -v148
	v_mov_b32_e32 v145, 0x3a95
	v_mul_f16_sdwa v127, v63, v127 dst_sel:DWORD dst_unused:UNUSED_PAD src0_sel:WORD_1 src1_sel:DWORD
	v_add_f16_e32 v122, v137, v122
	v_add_f16_e32 v137, v155, v144
	v_pk_fma_f16 v144, 0xbbc4, v63, v64 op_sel:[0,0,1] op_sel_hi:[0,1,0]
	v_pk_fma_f16 v64, 0xbbc4, v63, v64 op_sel:[0,0,1] op_sel_hi:[0,1,0] neg_lo:[0,0,1] neg_hi:[0,0,1]
	v_fmamk_f16 v157, v63, 0x3b15, v148
	v_fmamk_f16 v148, v63, 0xb9fd, v126
	v_add_f16_e32 v128, v140, v128
	v_mul_f16_sdwa v140, v149, v145 dst_sel:DWORD dst_unused:UNUSED_PAD src0_sel:WORD_1 src1_sel:DWORD
	v_fmamk_f16 v145, v149, 0x394e, v127
	v_fma_f16 v126, v63, 0xb9fd, -v126
	v_fmac_f16_e32 v127, 0xb94e, v149
	v_mul_f16_sdwa v121, v63, v121 dst_sel:DWORD dst_unused:UNUSED_PAD src0_sel:WORD_1 src1_sel:DWORD
	v_bfi_b32 v155, 0xffff, v144, v64
	v_mul_f16_sdwa v125, v63, v125 dst_sel:DWORD dst_unused:UNUSED_PAD src0_sel:WORD_1 src1_sel:DWORD
	v_add_f16_e32 v120, v126, v120
	v_add_f16_e32 v126, v127, v130
	v_fmamk_f16 v130, v149, 0xba95, v121
	v_fmac_f16_e32 v121, 0x3a95, v149
	v_add_f16_e32 v133, v158, v133
	v_pk_add_f16 v141, v155, v141
	v_add_f16_e32 v129, v148, v129
	v_fmamk_f16 v148, v63, 0x388b, v140
	v_add_f16_e32 v121, v121, v132
	v_fmamk_f16 v132, v149, 0x3b7b, v125
	v_pk_mul_f16 v118, 0xbbc4, v118 op_sel_hi:[0,1]
	s_barrier
	buffer_gl0_inv
	v_add_f16_e32 v127, v148, v131
	v_fma_f16 v131, v63, 0x388b, -v140
	v_mul_f16_sdwa v124, v149, v124 dst_sel:DWORD dst_unused:UNUSED_PAD src0_sel:WORD_1 src1_sel:DWORD
	v_add_f16_e32 v132, v132, v133
	v_pk_fma_f16 v133, 0xb3a8, v59, v118 op_sel:[0,0,1] op_sel_hi:[0,1,0]
	ds_write2_b32 v88, v119, v141 offset1:1
	v_pk_mul_f16 v119, 0x3b15, v146 op_sel_hi:[0,1]
	v_add_f16_e32 v135, v157, v135
	v_add_f16_e32 v138, v145, v138
	;; [unrolled: 1-line block ×4, first 2 shown]
	v_fmamk_f16 v131, v63, 0xb5ac, v124
	v_alignbit_b32 v134, s0, v133, 16
	v_pk_fma_f16 v59, 0xb3a8, v59, v118 op_sel:[0,0,1] op_sel_hi:[0,1,0] neg_lo:[0,1,0] neg_hi:[0,1,0]
	v_pk_fma_f16 v118, 0x3770, v143, v119 op_sel:[0,0,1] op_sel_hi:[0,1,0]
	v_pk_mul_f16 v70, 0xb9fd, v70 op_sel_hi:[0,1]
	v_add_f16_e32 v131, v131, v137
	v_pack_b32_f16 v129, v129, v138
	v_pack_b32_f16 v135, v135, v136
	v_pk_add_f16 v134, v61, v134
	v_alignbit_b32 v136, s0, v61, 16
	v_pk_add_f16 v59, v61, v59 op_sel:[1,0] op_sel_hi:[0,1]
	v_alignbit_b32 v137, s0, v118, 16
	v_pk_fma_f16 v119, 0x3770, v143, v119 op_sel:[0,0,1] op_sel_hi:[0,1,0] neg_lo:[0,1,0] neg_hi:[0,1,0]
	v_pk_fma_f16 v138, 0xb94e, v147, v70 op_sel:[0,0,1] op_sel_hi:[0,1,0]
	v_pk_mul_f16 v65, 0x388b, v65 op_sel_hi:[0,1]
	v_pk_add_f16 v133, v136, v133
	v_pk_add_f16 v134, v137, v134
	v_pk_add_f16 v59, v119, v59
	v_alignbit_b32 v119, s0, v138, 16
	v_pk_fma_f16 v70, 0xb94e, v147, v70 op_sel:[0,0,1] op_sel_hi:[0,1,0] neg_lo:[0,1,0] neg_hi:[0,1,0]
	v_pk_fma_f16 v136, 0x3a95, v151, v65 op_sel:[0,0,1] op_sel_hi:[0,1,0]
	v_pk_mul_f16 v66, 0xb5ac, v66 op_sel_hi:[0,1]
	v_bfi_b32 v62, 0xffff, v117, v62
	v_pk_add_f16 v118, v118, v133
	v_pk_add_f16 v119, v119, v134
	;; [unrolled: 1-line block ×3, first 2 shown]
	v_alignbit_b32 v70, s0, v136, 16
	v_pk_fma_f16 v65, 0x3a95, v151, v65 op_sel:[0,0,1] op_sel_hi:[0,1,0] neg_lo:[0,1,0] neg_hi:[0,1,0]
	v_pk_fma_f16 v133, 0xbb7b, v154, v66 op_sel:[0,0,1] op_sel_hi:[0,1,0]
	v_pk_add_f16 v61, v61, v62
	v_bfi_b32 v62, 0xffff, v72, v69
	v_fma_f16 v124, v63, 0xb5ac, -v124
	v_pk_add_f16 v118, v138, v118
	v_pk_add_f16 v70, v70, v119
	;; [unrolled: 1-line block ×3, first 2 shown]
	v_alignbit_b32 v65, s0, v133, 16
	v_pk_mul_f16 v63, 0x2fb7, v63 op_sel_hi:[0,1]
	v_pk_add_f16 v61, v62, v61
	v_bfi_b32 v62, 0xffff, v71, v152
	v_pk_add_f16 v69, v136, v118
	v_pk_fma_f16 v66, 0xbb7b, v154, v66 op_sel:[0,0,1] op_sel_hi:[0,1,0] neg_lo:[0,1,0] neg_hi:[0,1,0]
	v_pk_add_f16 v65, v65, v70
	v_pk_fma_f16 v70, 0x3bf1, v149, v63 op_sel:[0,0,1] op_sel_hi:[0,1,0]
	v_pk_add_f16 v61, v62, v61
	v_bfi_b32 v62, 0xffff, v68, v156
	v_pk_add_f16 v59, v66, v59
	v_pk_add_f16 v66, v133, v69
	v_alignbit_b32 v69, s0, v70, 16
	v_pk_fma_f16 v63, 0x3bf1, v149, v63 op_sel:[0,0,1] op_sel_hi:[0,1,0] neg_lo:[0,1,0] neg_hi:[0,1,0]
	v_fmac_f16_e32 v125, 0xbb7b, v149
	v_fmac_f16_e32 v153, 0x3770, v149
	v_pk_add_f16 v61, v62, v61
	v_bfi_b32 v62, 0xffff, v67, v150
	v_pk_add_f16 v65, v69, v65
	v_pk_add_f16 v59, v63, v59
	;; [unrolled: 1-line block ×3, first 2 shown]
	v_add_f16_e32 v124, v124, v139
	v_add_f16_e32 v125, v125, v142
	;; [unrolled: 1-line block ×3, first 2 shown]
	v_pk_add_f16 v61, v62, v61
	v_bfi_b32 v62, 0xffff, v64, v144
	v_pack_b32_f16 v66, v131, v132
	v_pack_b32_f16 v67, v127, v130
	v_alignbit_b32 v63, v63, v59, 16
	v_pack_b32_f16 v59, v65, v59
	v_pack_b32_f16 v64, v122, v121
	;; [unrolled: 1-line block ×5, first 2 shown]
	v_pk_add_f16 v61, v62, v61
	ds_write2_b32 v88, v135, v129 offset0:2 offset1:3
	ds_write2_b32 v88, v67, v66 offset0:4 offset1:5
	ds_write2_b32 v88, v59, v63 offset0:6 offset1:7
	ds_write2_b32 v88, v65, v64 offset0:8 offset1:9
	ds_write2_b32 v88, v69, v68 offset0:10 offset1:11
	ds_write_b32 v88, v61 offset:48
	s_and_saveexec_b32 s0, vcc_lo
	s_cbranch_execz .LBB0_13
; %bb.12:
	v_add_f16_sdwa v119, v102, v116 dst_sel:DWORD dst_unused:UNUSED_PAD src0_sel:WORD_1 src1_sel:DWORD
	v_sub_f16_e32 v64, v58, v90
	v_add_f16_e32 v120, v91, v93
	v_sub_f16_e32 v61, v23, v22
	v_add_f16_e32 v121, v92, v94
	v_mul_f16_e32 v122, 0xbbc4, v119
	v_sub_f16_e32 v62, v24, v21
	v_mul_f16_e32 v124, 0x3b15, v120
	v_add_f16_e32 v123, v99, v98
	v_mul_f16_e32 v126, 0xb9fd, v121
	v_fmamk_f16 v65, v64, 0x33a8, v122
	v_sub_f16_sdwa v127, v116, v102 dst_sel:DWORD dst_unused:UNUSED_PAD src0_sel:DWORD src1_sel:WORD_1
	v_fmamk_f16 v66, v61, 0xb770, v124
	v_sub_f16_e32 v59, v25, v28
	v_mul_f16_e32 v128, 0x388b, v123
	v_add_f16_e32 v67, v115, v65
	v_add_f16_e32 v65, v90, v58
	v_fmamk_f16 v68, v62, 0x394e, v126
	v_mul_f16_e32 v129, 0xb3a8, v127
	v_sub_f16_e32 v130, v93, v91
	v_add_f16_e32 v67, v66, v67
	v_add_f16_e32 v66, v22, v23
	v_fmamk_f16 v69, v59, 0xba95, v128
	v_sub_f16_e32 v132, v94, v92
	v_mul_f16_e32 v131, 0x3770, v130
	v_add_f16_e32 v67, v68, v67
	v_fmamk_f16 v68, v65, 0xbbc4, v129
	v_sub_f16_e32 v135, v98, v99
	v_mul_f16_e32 v134, 0xb94e, v132
	v_fmamk_f16 v70, v66, 0x3b15, v131
	v_add_f16_e32 v69, v69, v67
	v_add_f16_e32 v68, v57, v68
	;; [unrolled: 1-line block ×4, first 2 shown]
	v_mul_f16_e32 v137, 0x3a95, v135
	v_sub_f16_e32 v139, v103, v104
	v_add_f16_e32 v71, v70, v68
	v_fmamk_f16 v88, v67, 0xb9fd, v134
	v_add_f16_e32 v70, v28, v25
	v_sub_f16_e32 v63, v26, v27
	v_mul_f16_e32 v133, 0xb5ac, v125
	v_add_f16_e32 v136, v105, v106
	v_add_f16_e32 v88, v88, v71
	v_fmamk_f16 v117, v70, 0x388b, v137
	v_add_f16_e32 v71, v27, v26
	v_mul_f16_e32 v140, 0xbb7b, v139
	v_mul_f16_e32 v141, 0xb9fd, v119
	v_fmamk_f16 v72, v63, 0x3b7b, v133
	v_mul_f16_e32 v138, 0x2fb7, v136
	v_sub_f16_e32 v68, v102, v60
	v_add_f16_e32 v88, v117, v88
	v_fmamk_f16 v117, v71, 0xb5ac, v140
	v_fmamk_f16 v118, v64, 0x394e, v141
	v_mul_f16_e32 v142, 0x2fb7, v120
	v_add_f16_e32 v69, v72, v69
	v_fmamk_f16 v72, v68, 0xbbf1, v138
	v_add_f16_e32 v88, v117, v88
	v_sub_f16_e32 v143, v106, v105
	v_add_f16_e32 v117, v115, v118
	v_fmamk_f16 v118, v61, 0xbbf1, v142
	v_mul_f16_e32 v144, 0x388b, v121
	v_mul_f16_e32 v146, 0xb94e, v127
	v_add_f16_e32 v69, v72, v69
	v_add_f16_e32 v72, v60, v102
	v_mul_f16_e32 v145, 0x3bf1, v143
	v_add_f16_e32 v117, v118, v117
	v_fmamk_f16 v118, v62, 0x3a95, v144
	v_mul_f16_e32 v147, 0xbbc4, v123
	v_fmamk_f16 v149, v65, 0xb9fd, v146
	v_mul_f16_e32 v150, 0x3bf1, v130
	v_fmamk_f16 v148, v72, 0x2fb7, v145
	v_add_f16_e32 v117, v118, v117
	v_fmamk_f16 v118, v59, 0xb3a8, v147
	v_mul_f16_e32 v151, 0x3b15, v125
	v_add_f16_e32 v149, v57, v149
	v_fmamk_f16 v152, v66, 0x2fb7, v150
	v_mul_f16_e32 v153, 0xba95, v132
	v_add_f16_e32 v117, v118, v117
	v_fmamk_f16 v118, v63, 0xb770, v151
	v_add_f16_e32 v88, v148, v88
	v_add_f16_e32 v148, v152, v149
	v_fmamk_f16 v149, v67, 0x388b, v153
	v_mul_f16_e32 v152, 0x33a8, v135
	v_add_f16_e32 v117, v118, v117
	v_mul_f16_e32 v160, 0xbb7b, v127
	v_mul_f16_e32 v164, 0x394e, v130
	v_add_f16_e32 v118, v149, v148
	v_fmamk_f16 v148, v70, 0xbbc4, v152
	v_mul_f16_e32 v149, 0x3770, v139
	v_fmamk_f16 v163, v65, 0xb5ac, v160
	v_mul_f16_e32 v154, 0xb5ac, v136
	v_mul_f16_e32 v155, 0xb5ac, v119
	v_add_f16_e32 v118, v148, v118
	v_fmamk_f16 v148, v71, 0x3b15, v149
	v_add_f16_e32 v163, v57, v163
	v_fmamk_f16 v166, v66, 0xb9fd, v164
	v_mul_f16_e32 v167, 0x3770, v132
	v_fmamk_f16 v156, v68, 0x3b7b, v154
	v_add_f16_e32 v118, v148, v118
	v_mul_f16_e32 v148, 0xbb7b, v143
	v_fmamk_f16 v157, v64, 0x3b7b, v155
	v_mul_f16_e32 v158, 0xb9fd, v120
	v_add_f16_e32 v117, v156, v117
	v_mul_f16_e32 v159, 0x3b15, v121
	v_fmamk_f16 v162, v72, 0xb5ac, v148
	v_add_f16_e32 v156, v115, v157
	v_fmamk_f16 v157, v61, 0xb94e, v158
	v_mul_f16_e32 v169, 0x33a8, v139
	v_mul_f16_e32 v161, 0x2fb7, v123
	v_add_f16_e32 v118, v162, v118
	v_add_f16_e32 v162, v166, v163
	v_fmamk_f16 v163, v67, 0x3b15, v167
	v_mul_f16_e32 v166, 0xbbf1, v135
	v_add_f16_e32 v156, v157, v156
	v_fmamk_f16 v157, v62, 0xb770, v159
	v_mul_f16_e32 v174, 0xbbf1, v127
	;; [unrolled: 3-line block ×3, first 2 shown]
	v_add_f16_e32 v156, v157, v156
	v_fmamk_f16 v157, v59, 0x3bf1, v161
	v_fmamk_f16 v177, v65, 0x2fb7, v174
	v_add_f16_e32 v162, v163, v162
	v_fmamk_f16 v163, v71, 0xbbc4, v169
	v_mul_f16_e32 v178, 0xb3a8, v130
	v_add_f16_e32 v156, v157, v156
	v_fmamk_f16 v157, v63, 0xb3a8, v165
	v_add_f16_e32 v177, v57, v177
	v_add_f16_e32 v162, v163, v162
	v_mul_f16_e32 v163, 0x3a95, v143
	v_fmamk_f16 v180, v66, 0xbbc4, v178
	v_mul_f16_e32 v181, 0x3b7b, v132
	v_add_f16_e32 v156, v157, v156
	v_mul_f16_e32 v157, 0x388b, v136
	v_fmamk_f16 v176, v72, 0x388b, v163
	v_mul_f16_e32 v168, 0x2fb7, v119
	v_mul_f16_e32 v172, 0xbbc4, v120
	;; [unrolled: 1-line block ×3, first 2 shown]
	v_fmamk_f16 v170, v68, 0xba95, v157
	v_add_f16_e32 v162, v176, v162
	v_add_f16_e32 v176, v180, v177
	v_fmamk_f16 v177, v67, 0xb5ac, v181
	v_mul_f16_e32 v180, 0x3770, v135
	v_fmamk_f16 v171, v64, 0x3bf1, v168
	v_add_f16_e32 v156, v170, v156
	v_mul_f16_e32 v173, 0xb5ac, v121
	v_add_f16_e32 v176, v177, v176
	v_fmamk_f16 v177, v70, 0x3b15, v180
	v_add_f16_e32 v170, v115, v171
	v_fmamk_f16 v171, v61, 0x33a8, v172
	v_add_f16_e32 v58, v58, v57
	v_add_f16_e32 v116, v116, v115
	;; [unrolled: 1-line block ×3, first 2 shown]
	v_fmamk_f16 v177, v71, 0x388b, v183
	v_add_f16_e32 v170, v171, v170
	v_fmamk_f16 v171, v62, 0xbb7b, v173
	v_mul_f16_e32 v175, 0x3b15, v123
	v_add_f16_e32 v23, v23, v58
	v_add_f16_e32 v176, v177, v176
	v_mul_f16_e32 v177, 0xba95, v127
	v_add_f16_e32 v93, v93, v116
	v_add_f16_e32 v170, v171, v170
	v_fmamk_f16 v171, v59, 0xb770, v175
	v_mul_f16_e32 v179, 0x388b, v125
	v_fmamk_f16 v190, v65, 0x388b, v177
	v_mul_f16_e32 v191, 0xbb7b, v130
	v_add_f16_e32 v23, v24, v23
	v_add_f16_e32 v93, v94, v93
	;; [unrolled: 1-line block ×3, first 2 shown]
	v_fmamk_f16 v171, v63, 0x3a95, v179
	v_add_f16_e32 v190, v57, v190
	v_fmamk_f16 v193, v66, 0xb5ac, v191
	v_mul_f16_e32 v194, 0xb3a8, v132
	v_mul_f16_e32 v127, 0xb770, v127
	v_add_f16_e32 v23, v25, v23
	v_add_f16_e32 v93, v98, v93
	v_add_f16_e32 v170, v171, v170
	v_mul_f16_e32 v171, 0x388b, v119
	v_add_f16_e32 v190, v193, v190
	v_fmamk_f16 v193, v67, 0xbbc4, v194
	v_mul_f16_e32 v196, 0x394e, v135
	v_mul_f16_e32 v119, 0x3b15, v119
	v_fmamk_f16 v94, v65, 0x3b15, v127
	v_mul_f16_e32 v25, 0xba95, v130
	v_add_f16_e32 v23, v26, v23
	v_add_f16_e32 v93, v103, v93
	v_fmamk_f16 v184, v64, 0x3a95, v171
	v_mul_f16_e32 v185, 0xb5ac, v120
	v_mul_f16_e32 v189, 0xb94e, v143
	v_add_f16_e32 v190, v193, v190
	v_fmamk_f16 v193, v70, 0xb9fd, v196
	v_mul_f16_e32 v197, 0x3bf1, v139
	v_fmamk_f16 v198, v64, 0x3770, v119
	v_mul_f16_e32 v120, 0x388b, v120
	v_add_f16_e32 v94, v57, v94
	v_fmamk_f16 v26, v66, 0x388b, v25
	v_mul_f16_e32 v103, 0xbbf1, v132
	v_add_f16_e32 v23, v102, v23
	v_add_f16_e32 v93, v106, v93
	;; [unrolled: 1-line block ×3, first 2 shown]
	v_fmamk_f16 v187, v61, 0x3b7b, v185
	v_mul_f16_e32 v188, 0xbbc4, v121
	v_fmamk_f16 v195, v72, 0xb9fd, v189
	v_add_f16_e32 v190, v193, v190
	v_fmamk_f16 v193, v71, 0x2fb7, v197
	v_add_f16_e32 v198, v115, v198
	v_fmamk_f16 v200, v61, 0x3a95, v120
	v_mul_f16_e32 v121, 0x2fb7, v121
	v_add_f16_e32 v26, v26, v94
	v_fmamk_f16 v94, v67, 0x2fb7, v103
	v_mul_f16_e32 v106, 0xbb7b, v135
	v_add_f16_e32 v23, v60, v23
	v_add_f16_e32 v60, v105, v93
	;; [unrolled: 1-line block ×3, first 2 shown]
	v_mul_f16_e32 v187, 0xb9fd, v123
	v_add_f16_e32 v176, v195, v176
	v_add_f16_e32 v190, v193, v190
	;; [unrolled: 1-line block ×3, first 2 shown]
	v_fmamk_f16 v195, v62, 0x3bf1, v121
	v_mul_f16_e32 v123, 0xb5ac, v123
	v_add_f16_e32 v26, v94, v26
	v_fmamk_f16 v93, v70, 0xb5ac, v106
	v_add_f16_e32 v23, v27, v23
	v_mul_f16_e32 v27, 0xb94e, v139
	v_add_f16_e32 v60, v104, v60
	v_add_f16_e32 v58, v195, v193
	v_fmamk_f16 v116, v59, 0x3b7b, v123
	v_mul_f16_e32 v98, 0xb9fd, v125
	v_add_f16_e32 v26, v93, v26
	v_add_f16_e32 v23, v28, v23
	v_fmamk_f16 v28, v71, 0xb9fd, v27
	v_add_f16_e32 v60, v99, v60
	v_mul_f16_e32 v93, 0xb3a8, v143
	v_add_f16_e32 v58, v116, v58
	v_fmamk_f16 v116, v63, 0x394e, v98
	v_mul_f16_e32 v94, 0xbbc4, v136
	v_add_f16_e32 v21, v21, v23
	v_add_f16_e32 v23, v28, v26
	;; [unrolled: 1-line block ×3, first 2 shown]
	v_fmamk_f16 v28, v72, 0xbbc4, v93
	v_add_f16_e32 v58, v116, v58
	v_fmamk_f16 v99, v68, 0x33a8, v94
	v_add_f16_e32 v21, v22, v21
	v_add_f16_e32 v26, v91, v26
	;; [unrolled: 1-line block ×3, first 2 shown]
	v_fma_f16 v28, v65, 0xbbc4, -v129
	v_fmac_f16_e32 v141, 0xb94e, v64
	v_fma_f16 v91, v65, 0xb9fd, -v146
	v_fmac_f16_e32 v155, 0xbb7b, v64
	v_add_f16_e32 v22, v99, v58
	v_add_f16_e32 v21, v90, v21
	v_add_f16_e32 v28, v57, v28
	v_fma_f16 v60, v66, 0x3b15, -v131
	v_add_f16_e32 v90, v115, v141
	v_fmac_f16_e32 v142, 0x3bf1, v61
	v_add_f16_e32 v91, v57, v91
	v_fma_f16 v92, v66, 0x2fb7, -v150
	v_add_f16_e32 v99, v115, v155
	v_fmac_f16_e32 v158, 0x394e, v61
	v_add_f16_e32 v28, v60, v28
	;; [unrolled: 4-line block ×7, first 2 shown]
	v_fma_f16 v92, v71, 0x3b15, -v149
	v_add_f16_e32 v99, v161, v99
	v_fmac_f16_e32 v165, 0x33a8, v63
	v_mul_f16_e32 v182, 0xb9fd, v136
	v_add_f16_e32 v28, v60, v28
	v_fma_f16 v60, v72, 0x2fb7, -v145
	v_add_f16_e32 v90, v151, v90
	v_fmac_f16_e32 v154, 0xbb7b, v68
	v_add_f16_e32 v91, v92, v91
	v_fma_f16 v92, v72, 0xb5ac, -v148
	v_add_f16_e32 v99, v165, v99
	v_fmac_f16_e32 v157, 0x3a95, v68
	v_fmamk_f16 v186, v68, 0x394e, v182
	v_add_f16_e32 v28, v60, v28
	v_add_f16_e32 v60, v154, v90
	v_fma_f16 v90, v65, 0xb5ac, -v160
	v_add_f16_e32 v91, v92, v91
	v_add_f16_e32 v92, v157, v99
	v_fma_f16 v99, v65, 0x2fb7, -v174
	v_fmac_f16_e32 v171, 0xba95, v64
	v_add_f16_e32 v170, v186, v170
	v_fmamk_f16 v186, v62, 0x33a8, v188
	v_add_f16_sdwa v26, v102, v26 dst_sel:DWORD dst_unused:UNUSED_PAD src0_sel:WORD_1 src1_sel:DWORD
	v_add_f16_e32 v90, v57, v90
	v_fma_f16 v102, v66, 0xb9fd, -v164
	v_add_f16_e32 v99, v57, v99
	v_fma_f16 v104, v66, 0xbbc4, -v178
	v_add_f16_e32 v105, v115, v171
	v_fmac_f16_e32 v185, 0xbb7b, v61
	v_add_f16_e32 v184, v186, v184
	v_fmamk_f16 v186, v59, 0xb94e, v187
	v_mul_f16_e32 v192, 0x2fb7, v125
	v_add_f16_e32 v90, v102, v90
	v_fma_f16 v102, v67, 0x3b15, -v167
	v_add_f16_e32 v99, v104, v99
	v_fma_f16 v104, v67, 0xb5ac, -v181
	v_add_f16_e32 v105, v185, v105
	v_fmac_f16_e32 v188, 0xb3a8, v62
	v_add_f16_e32 v184, v186, v184
	v_fmamk_f16 v186, v63, 0xbbf1, v192
	v_add_f16_e32 v90, v102, v90
	v_fma_f16 v102, v70, 0x2fb7, -v166
	v_add_f16_e32 v99, v104, v99
	v_fma_f16 v104, v70, 0x3b15, -v180
	v_add_f16_e32 v105, v188, v105
	v_fmac_f16_e32 v187, 0x394e, v59
	v_add_f16_e32 v184, v186, v184
	v_mul_f16_e32 v186, 0x3b15, v136
	v_add_f16_e32 v90, v102, v90
	v_fma_f16 v102, v71, 0xbbc4, -v169
	v_add_f16_e32 v99, v104, v99
	v_fma_f16 v104, v71, 0x388b, -v183
	v_add_f16_e32 v105, v187, v105
	v_fmac_f16_e32 v192, 0x3bf1, v63
	v_fmac_f16_e32 v122, 0xb3a8, v64
	v_fmamk_f16 v199, v68, 0xb770, v186
	v_add_f16_e32 v90, v102, v90
	v_fma_f16 v102, v72, 0x388b, -v163
	v_fmac_f16_e32 v168, 0xbbf1, v64
	v_add_f16_e32 v99, v104, v99
	v_fma_f16 v104, v72, 0xb9fd, -v189
	v_add_f16_e32 v105, v192, v105
	v_fmac_f16_e32 v186, 0x3770, v68
	v_fma_f16 v116, v65, 0x388b, -v177
	v_fmac_f16_e32 v119, 0xb770, v64
	v_fma_f16 v65, v65, 0x3b15, -v127
	v_add_f16_e32 v58, v115, v122
	v_fmac_f16_e32 v124, 0x3770, v61
	v_add_f16_e32 v90, v102, v90
	v_add_f16_e32 v102, v115, v168
	v_fmac_f16_e32 v172, 0xb3a8, v61
	v_add_f16_e32 v99, v104, v99
	v_add_f16_e32 v64, v186, v105
	;; [unrolled: 1-line block ×3, first 2 shown]
	v_fma_f16 v105, v66, 0xb5ac, -v191
	v_add_f16_e32 v115, v115, v119
	v_fmac_f16_e32 v120, 0xba95, v61
	v_add_f16_e32 v57, v57, v65
	v_fma_f16 v25, v66, 0x388b, -v25
	v_add_f16_e32 v58, v124, v58
	v_fmac_f16_e32 v126, 0xb94e, v62
	v_add_f16_e32 v102, v172, v102
	v_fmac_f16_e32 v173, 0x3b7b, v62
	v_add_f16_e32 v61, v105, v104
	v_fma_f16 v65, v67, 0xbbc4, -v194
	v_add_f16_e32 v66, v120, v115
	v_fmac_f16_e32 v121, 0xbbf1, v62
	v_add_f16_e32 v25, v25, v57
	v_fma_f16 v57, v67, 0x2fb7, -v103
	v_mul_f16_e32 v198, 0x3770, v143
	v_add_f16_e32 v58, v126, v58
	v_fmac_f16_e32 v128, 0x3a95, v59
	v_add_f16_e32 v102, v173, v102
	v_fmac_f16_e32 v175, 0x3770, v59
	v_add_f16_e32 v61, v65, v61
	v_fma_f16 v62, v70, 0xb9fd, -v196
	v_add_f16_e32 v65, v121, v66
	v_fmac_f16_e32 v123, 0xbb7b, v59
	v_add_f16_e32 v25, v57, v25
	v_fma_f16 v57, v70, 0xb5ac, -v106
	v_fmamk_f16 v24, v72, 0x3b15, v198
	v_add_f16_e32 v58, v128, v58
	v_fmac_f16_e32 v133, 0xbb7b, v63
	v_add_f16_e32 v102, v175, v102
	v_fmac_f16_e32 v179, 0xba95, v63
	v_add_f16_e32 v59, v62, v61
	v_fma_f16 v61, v71, 0x2fb7, -v197
	v_add_f16_e32 v62, v123, v65
	v_fmac_f16_e32 v98, 0xb94e, v63
	v_add_f16_e32 v25, v57, v25
	v_fma_f16 v27, v71, 0xb9fd, -v27
	v_add_f16_e32 v184, v199, v184
	v_add_f16_e32 v24, v24, v190
	;; [unrolled: 1-line block ×3, first 2 shown]
	v_fmac_f16_e32 v138, 0x3bf1, v68
	v_add_f16_e32 v102, v179, v102
	v_fmac_f16_e32 v182, 0xb94e, v68
	v_add_f16_e32 v57, v61, v59
	v_fma_f16 v59, v72, 0x3b15, -v198
	v_add_f16_e32 v61, v98, v62
	v_fmac_f16_e32 v94, 0xb3a8, v68
	v_add_f16_e32 v25, v27, v25
	v_fma_f16 v27, v72, 0xbbc4, -v93
	v_lshlrev_b32_e32 v62, 2, v89
	v_pack_b32_f16 v22, v23, v22
	v_pack_b32_f16 v21, v21, v26
	v_add_f16_e32 v58, v138, v58
	v_pack_b32_f16 v23, v176, v170
	v_pack_b32_f16 v24, v24, v184
	v_add_f16_e32 v102, v182, v102
	v_add_f16_e32 v26, v59, v57
	;; [unrolled: 1-line block ×4, first 2 shown]
	ds_write2_b32 v62, v21, v22 offset1:1
	ds_write2_b32 v62, v24, v23 offset0:2 offset1:3
	v_pack_b32_f16 v21, v118, v117
	v_pack_b32_f16 v22, v162, v156
	;; [unrolled: 1-line block ×9, first 2 shown]
	ds_write2_b32 v62, v22, v21 offset0:4 offset1:5
	ds_write2_b32 v62, v24, v23 offset0:6 offset1:7
	;; [unrolled: 1-line block ×4, first 2 shown]
	ds_write_b32 v62, v25 offset:48
.LBB0_13:
	s_or_b32 exec_lo, exec_lo, s0
	v_add_nc_u32_e32 v24, 0x600, v73
	v_add_nc_u32_e32 v21, 0x1200, v73
	s_waitcnt lgkmcnt(0)
	s_barrier
	buffer_gl0_inv
	ds_read2_b32 v[57:58], v24 offset0:84 offset1:201
	v_add_nc_u32_e32 v23, 0xa00, v73
	ds_read2_b32 v[27:28], v73 offset1:117
	ds_read_b32 v69, v73 offset:6552
	ds_read2_b32 v[59:60], v21 offset0:18 offset1:135
	v_add_nc_u32_e32 v26, 0x200, v73
	v_add_nc_u32_e32 v25, 0x1400, v73
	ds_read2_b32 v[61:62], v23 offset0:62 offset1:179
	v_add_nc_u32_e32 v22, 0xe00, v73
	ds_read2_b32 v[63:64], v26 offset0:106 offset1:223
	ds_read2_b32 v[65:66], v25 offset0:124 offset1:241
	;; [unrolled: 1-line block ×3, first 2 shown]
	s_waitcnt lgkmcnt(0)
	s_barrier
	buffer_gl0_inv
	s_mov_b32 s4, 0x68012abd
	s_mov_b32 s5, 0x3f42abd5
	v_lshrrev_b32_e32 v88, 16, v58
	v_mul_f16_sdwa v105, v37, v58 dst_sel:DWORD dst_unused:UNUSED_PAD src0_sel:WORD_1 src1_sel:DWORD
	v_lshrrev_b32_e32 v72, 16, v69
	v_lshrrev_b32_e32 v89, 16, v59
	;; [unrolled: 1-line block ×3, first 2 shown]
	v_mul_f16_sdwa v103, v37, v88 dst_sel:DWORD dst_unused:UNUSED_PAD src0_sel:WORD_1 src1_sel:DWORD
	v_lshrrev_b32_e32 v90, 16, v61
	v_lshrrev_b32_e32 v93, 16, v62
	v_mul_f16_sdwa v115, v38, v89 dst_sel:DWORD dst_unused:UNUSED_PAD src0_sel:WORD_1 src1_sel:DWORD
	v_lshrrev_b32_e32 v94, 16, v65
	v_fmac_f16_e32 v103, v37, v58
	v_mul_f16_sdwa v58, v38, v59 dst_sel:DWORD dst_unused:UNUSED_PAD src0_sel:WORD_1 src1_sel:DWORD
	v_fma_f16 v37, v37, v88, -v105
	v_mul_f16_sdwa v88, v35, v90 dst_sel:DWORD dst_unused:UNUSED_PAD src0_sel:WORD_1 src1_sel:DWORD
	v_fmac_f16_e32 v115, v38, v59
	v_mul_f16_sdwa v59, v35, v61 dst_sel:DWORD dst_unused:UNUSED_PAD src0_sel:WORD_1 src1_sel:DWORD
	v_fma_f16 v38, v38, v89, -v58
	v_mul_f16_sdwa v58, v36, v91 dst_sel:DWORD dst_unused:UNUSED_PAD src0_sel:WORD_1 src1_sel:DWORD
	;; [unrolled: 4-line block ×3, first 2 shown]
	v_lshrrev_b32_e32 v99, 16, v67
	v_fmac_f16_e32 v58, v36, v60
	v_mul_f16_sdwa v60, v33, v62 dst_sel:DWORD dst_unused:UNUSED_PAD src0_sel:WORD_1 src1_sel:DWORD
	v_fma_f16 v36, v36, v91, -v61
	v_mul_f16_sdwa v61, v34, v94 dst_sel:DWORD dst_unused:UNUSED_PAD src0_sel:WORD_1 src1_sel:DWORD
	v_lshrrev_b32_e32 v102, 16, v66
	v_fmac_f16_e32 v59, v33, v62
	v_mul_f16_sdwa v62, v34, v65 dst_sel:DWORD dst_unused:UNUSED_PAD src0_sel:WORD_1 src1_sel:DWORD
	v_lshrrev_b32_e32 v106, 16, v68
	v_fma_f16 v33, v33, v93, -v60
	v_mul_f16_sdwa v60, v31, v99 dst_sel:DWORD dst_unused:UNUSED_PAD src0_sel:WORD_1 src1_sel:DWORD
	v_fmac_f16_e32 v61, v34, v65
	v_mul_f16_sdwa v65, v31, v67 dst_sel:DWORD dst_unused:UNUSED_PAD src0_sel:WORD_1 src1_sel:DWORD
	v_fma_f16 v34, v34, v94, -v62
	v_mul_f16_sdwa v62, v32, v102 dst_sel:DWORD dst_unused:UNUSED_PAD src0_sel:WORD_1 src1_sel:DWORD
	v_fmac_f16_e32 v60, v31, v67
	v_mul_f16_sdwa v67, v32, v66 dst_sel:DWORD dst_unused:UNUSED_PAD src0_sel:WORD_1 src1_sel:DWORD
	v_fma_f16 v31, v31, v99, -v65
	v_mul_f16_sdwa v65, v29, v106 dst_sel:DWORD dst_unused:UNUSED_PAD src0_sel:WORD_1 src1_sel:DWORD
	v_fmac_f16_e32 v62, v32, v66
	v_mul_f16_sdwa v66, v29, v68 dst_sel:DWORD dst_unused:UNUSED_PAD src0_sel:WORD_1 src1_sel:DWORD
	v_fma_f16 v32, v32, v102, -v67
	v_mul_f16_sdwa v67, v30, v72 dst_sel:DWORD dst_unused:UNUSED_PAD src0_sel:WORD_1 src1_sel:DWORD
	v_fmac_f16_e32 v65, v29, v68
	v_mul_f16_sdwa v68, v30, v69 dst_sel:DWORD dst_unused:UNUSED_PAD src0_sel:WORD_1 src1_sel:DWORD
	v_lshrrev_b32_e32 v70, 16, v27
	v_fma_f16 v29, v29, v106, -v66
	v_add_f16_e32 v66, v103, v115
	v_fmac_f16_e32 v67, v30, v69
	v_fma_f16 v30, v30, v72, -v68
	v_add_f16_e32 v68, v37, v38
	v_add_f16_e32 v69, v27, v103
	v_fma_f16 v27, -0.5, v66, v27
	v_sub_f16_e32 v66, v37, v38
	v_add_f16_e32 v37, v70, v37
	v_fmac_f16_e32 v70, -0.5, v68
	v_sub_f16_e32 v68, v103, v115
	v_lshrrev_b32_e32 v71, 16, v28
	v_fmamk_f16 v72, v66, 0xbaee, v27
	v_add_f16_e32 v37, v37, v38
	v_add_f16_e32 v38, v88, v58
	v_fmac_f16_e32 v27, 0x3aee, v66
	v_fmamk_f16 v66, v68, 0x3aee, v70
	v_add_f16_e32 v89, v28, v88
	v_fmac_f16_e32 v70, 0xbaee, v68
	v_add_f16_e32 v68, v35, v36
	v_fmac_f16_e32 v28, -0.5, v38
	v_sub_f16_e32 v38, v35, v36
	v_add_f16_e32 v35, v71, v35
	v_add_f16_e32 v89, v89, v58
	v_fmac_f16_e32 v71, -0.5, v68
	v_sub_f16_e32 v58, v88, v58
	v_lshrrev_b32_e32 v92, 16, v63
	v_add_f16_e32 v35, v35, v36
	v_add_f16_e32 v36, v59, v61
	v_fmamk_f16 v68, v38, 0xbaee, v28
	v_fmac_f16_e32 v28, 0x3aee, v38
	v_fmamk_f16 v38, v58, 0x3aee, v71
	v_fmac_f16_e32 v71, 0xbaee, v58
	v_add_f16_e32 v58, v33, v34
	v_add_f16_e32 v88, v63, v59
	v_fma_f16 v36, -0.5, v36, v63
	v_sub_f16_e32 v63, v33, v34
	v_add_f16_e32 v33, v92, v33
	v_fmac_f16_e32 v92, -0.5, v58
	v_sub_f16_e32 v58, v59, v61
	v_lshrrev_b32_e32 v98, 16, v64
	v_add_f16_e32 v88, v88, v61
	v_add_f16_e32 v33, v33, v34
	;; [unrolled: 1-line block ×3, first 2 shown]
	v_fmamk_f16 v61, v58, 0x3aee, v92
	v_fmac_f16_e32 v92, 0xbaee, v58
	v_add_f16_e32 v58, v31, v32
	v_fmamk_f16 v59, v63, 0xbaee, v36
	v_fmac_f16_e32 v36, 0x3aee, v63
	v_add_f16_e32 v63, v64, v60
	v_fmac_f16_e32 v64, -0.5, v34
	v_sub_f16_e32 v34, v31, v32
	v_add_f16_e32 v31, v98, v31
	v_fmac_f16_e32 v98, -0.5, v58
	v_sub_f16_e32 v58, v60, v62
	v_lshrrev_b32_e32 v104, 16, v57
	v_fmamk_f16 v60, v34, 0xbaee, v64
	v_add_f16_e32 v31, v31, v32
	v_add_f16_e32 v32, v65, v67
	v_fmac_f16_e32 v64, 0x3aee, v34
	v_fmamk_f16 v34, v58, 0x3aee, v98
	v_fmac_f16_e32 v98, 0xbaee, v58
	v_add_f16_e32 v58, v29, v30
	v_add_f16_e32 v69, v69, v115
	;; [unrolled: 1-line block ×4, first 2 shown]
	v_fmac_f16_e32 v57, -0.5, v32
	v_sub_f16_e32 v32, v29, v30
	v_add_f16_e32 v29, v104, v29
	v_fmac_f16_e32 v104, -0.5, v58
	v_sub_f16_e32 v58, v65, v67
	v_pack_b32_f16 v27, v27, v70
	v_fmamk_f16 v65, v32, 0xbaee, v57
	v_fmac_f16_e32 v57, 0x3aee, v32
	v_pack_b32_f16 v32, v69, v37
	v_pack_b32_f16 v37, v72, v66
	;; [unrolled: 1-line block ×4, first 2 shown]
	v_add_f16_e32 v62, v62, v67
	v_add_f16_e32 v29, v29, v30
	v_fmamk_f16 v30, v58, 0x3aee, v104
	v_pack_b32_f16 v28, v28, v71
	v_fmac_f16_e32 v104, 0xbaee, v58
	v_pack_b32_f16 v33, v88, v33
	v_pack_b32_f16 v58, v59, v61
	ds_write2_b32 v101, v32, v37 offset1:13
	ds_write_b32 v101, v27 offset:104
	ds_write2_b32 v100, v35, v38 offset1:13
	ds_write_b32 v100, v28 offset:104
	ds_write2_b32 v97, v33, v58 offset1:13
	v_pack_b32_f16 v27, v36, v92
	v_pack_b32_f16 v28, v63, v31
	;; [unrolled: 1-line block ×7, first 2 shown]
	ds_write_b32 v97, v27 offset:104
	ds_write2_b32 v96, v28, v31 offset1:13
	ds_write_b32 v96, v32 offset:104
	ds_write2_b32 v95, v29, v30 offset1:13
	ds_write_b32 v95, v33 offset:104
	s_waitcnt lgkmcnt(0)
	s_barrier
	buffer_gl0_inv
	ds_read2_b32 v[27:28], v73 offset1:117
	ds_read2_b32 v[29:30], v24 offset0:84 offset1:201
	ds_read2_b32 v[31:32], v21 offset0:18 offset1:135
	;; [unrolled: 1-line block ×6, first 2 shown]
	ds_read_b32 v59, v73 offset:6552
	s_waitcnt lgkmcnt(0)
	s_barrier
	buffer_gl0_inv
	v_lshrrev_b32_e32 v60, 16, v27
	v_lshrrev_b32_e32 v61, 16, v30
	;; [unrolled: 1-line block ×4, first 2 shown]
	v_mul_f16_sdwa v90, v47, v30 dst_sel:DWORD dst_unused:UNUSED_PAD src0_sel:WORD_1 src1_sel:DWORD
	v_lshrrev_b32_e32 v65, 16, v32
	v_mul_f16_sdwa v88, v47, v61 dst_sel:DWORD dst_unused:UNUSED_PAD src0_sel:WORD_1 src1_sel:DWORD
	v_mul_f16_sdwa v92, v48, v62 dst_sel:DWORD dst_unused:UNUSED_PAD src0_sel:WORD_1 src1_sel:DWORD
	v_lshrrev_b32_e32 v67, 16, v34
	v_lshrrev_b32_e32 v68, 16, v37
	;; [unrolled: 1-line block ×3, first 2 shown]
	v_fmac_f16_e32 v88, v47, v30
	v_mul_f16_sdwa v30, v48, v31 dst_sel:DWORD dst_unused:UNUSED_PAD src0_sel:WORD_1 src1_sel:DWORD
	v_fma_f16 v47, v47, v61, -v90
	v_mul_f16_sdwa v61, v45, v64 dst_sel:DWORD dst_unused:UNUSED_PAD src0_sel:WORD_1 src1_sel:DWORD
	v_fmac_f16_e32 v92, v48, v31
	v_mul_f16_sdwa v31, v45, v33 dst_sel:DWORD dst_unused:UNUSED_PAD src0_sel:WORD_1 src1_sel:DWORD
	v_fma_f16 v30, v48, v62, -v30
	v_mul_f16_sdwa v48, v46, v65 dst_sel:DWORD dst_unused:UNUSED_PAD src0_sel:WORD_1 src1_sel:DWORD
	;; [unrolled: 4-line block ×4, first 2 shown]
	v_lshrrev_b32_e32 v71, 16, v38
	v_fmac_f16_e32 v45, v43, v34
	v_mul_f16_sdwa v34, v44, v37 dst_sel:DWORD dst_unused:UNUSED_PAD src0_sel:WORD_1 src1_sel:DWORD
	v_lshrrev_b32_e32 v89, 16, v58
	v_fma_f16 v32, v43, v67, -v32
	v_mul_f16_sdwa v43, v41, v70 dst_sel:DWORD dst_unused:UNUSED_PAD src0_sel:WORD_1 src1_sel:DWORD
	v_fmac_f16_e32 v46, v44, v37
	v_mul_f16_sdwa v37, v41, v57 dst_sel:DWORD dst_unused:UNUSED_PAD src0_sel:WORD_1 src1_sel:DWORD
	v_fma_f16 v34, v44, v68, -v34
	v_mul_f16_sdwa v44, v42, v71 dst_sel:DWORD dst_unused:UNUSED_PAD src0_sel:WORD_1 src1_sel:DWORD
	v_lshrrev_b32_e32 v91, 16, v59
	v_fmac_f16_e32 v43, v41, v57
	v_mul_f16_sdwa v57, v42, v38 dst_sel:DWORD dst_unused:UNUSED_PAD src0_sel:WORD_1 src1_sel:DWORD
	v_fma_f16 v37, v41, v70, -v37
	v_mul_f16_sdwa v41, v39, v89 dst_sel:DWORD dst_unused:UNUSED_PAD src0_sel:WORD_1 src1_sel:DWORD
	v_fmac_f16_e32 v44, v42, v38
	v_mul_f16_sdwa v38, v39, v58 dst_sel:DWORD dst_unused:UNUSED_PAD src0_sel:WORD_1 src1_sel:DWORD
	v_fma_f16 v42, v42, v71, -v57
	v_mul_f16_sdwa v57, v40, v91 dst_sel:DWORD dst_unused:UNUSED_PAD src0_sel:WORD_1 src1_sel:DWORD
	v_fmac_f16_e32 v41, v39, v58
	v_mul_f16_sdwa v58, v40, v59 dst_sel:DWORD dst_unused:UNUSED_PAD src0_sel:WORD_1 src1_sel:DWORD
	v_fma_f16 v38, v39, v89, -v38
	v_add_f16_e32 v39, v88, v92
	v_fmac_f16_e32 v57, v40, v59
	v_add_f16_e32 v59, v27, v88
	v_fma_f16 v40, v40, v91, -v58
	v_add_f16_e32 v58, v47, v30
	v_fma_f16 v27, -0.5, v39, v27
	v_sub_f16_e32 v39, v47, v30
	v_add_f16_e32 v47, v60, v47
	v_lshrrev_b32_e32 v63, 16, v28
	v_fmac_f16_e32 v60, -0.5, v58
	v_sub_f16_e32 v58, v88, v92
	v_fmamk_f16 v62, v39, 0xbaee, v27
	v_fmac_f16_e32 v27, 0x3aee, v39
	v_add_f16_e32 v39, v61, v48
	v_add_f16_e32 v30, v47, v30
	v_fmamk_f16 v47, v58, 0x3aee, v60
	v_add_f16_e32 v64, v28, v61
	v_fmac_f16_e32 v60, 0xbaee, v58
	v_add_f16_e32 v58, v31, v33
	v_fmac_f16_e32 v28, -0.5, v39
	v_sub_f16_e32 v39, v31, v33
	v_add_f16_e32 v31, v63, v31
	v_add_f16_e32 v64, v64, v48
	v_fmac_f16_e32 v63, -0.5, v58
	v_sub_f16_e32 v48, v61, v48
	v_lshrrev_b32_e32 v66, 16, v35
	v_add_f16_e32 v31, v31, v33
	v_add_f16_e32 v33, v45, v46
	v_fmamk_f16 v58, v39, 0xbaee, v28
	v_fmac_f16_e32 v28, 0x3aee, v39
	v_fmamk_f16 v39, v48, 0x3aee, v63
	v_fmac_f16_e32 v63, 0xbaee, v48
	v_add_f16_e32 v48, v32, v34
	v_add_f16_e32 v61, v35, v45
	v_fma_f16 v33, -0.5, v33, v35
	v_sub_f16_e32 v35, v32, v34
	v_add_f16_e32 v32, v66, v32
	v_fmac_f16_e32 v66, -0.5, v48
	v_sub_f16_e32 v45, v45, v46
	v_lshrrev_b32_e32 v69, 16, v36
	v_add_f16_e32 v61, v61, v46
	v_add_f16_e32 v32, v32, v34
	;; [unrolled: 1-line block ×3, first 2 shown]
	v_fmamk_f16 v46, v35, 0xbaee, v33
	v_fmac_f16_e32 v33, 0x3aee, v35
	v_fmamk_f16 v35, v45, 0x3aee, v66
	v_fmac_f16_e32 v66, 0xbaee, v45
	v_add_f16_e32 v45, v37, v42
	v_add_f16_e32 v48, v36, v43
	v_fmac_f16_e32 v36, -0.5, v34
	v_sub_f16_e32 v34, v37, v42
	v_add_f16_e32 v37, v69, v37
	v_fmac_f16_e32 v69, -0.5, v45
	v_sub_f16_e32 v43, v43, v44
	v_lshrrev_b32_e32 v72, 16, v29
	v_add_f16_e32 v48, v48, v44
	v_fmamk_f16 v44, v34, 0xbaee, v36
	v_fmac_f16_e32 v36, 0x3aee, v34
	v_add_f16_e32 v34, v37, v42
	v_add_f16_e32 v37, v41, v57
	v_fmamk_f16 v42, v43, 0x3aee, v69
	v_fmac_f16_e32 v69, 0xbaee, v43
	v_add_f16_e32 v43, v38, v40
	v_add_f16_e32 v59, v59, v92
	;; [unrolled: 1-line block ×3, first 2 shown]
	v_fmac_f16_e32 v29, -0.5, v37
	v_sub_f16_e32 v37, v38, v40
	v_add_f16_e32 v38, v72, v38
	v_fmac_f16_e32 v72, -0.5, v43
	v_sub_f16_e32 v41, v41, v57
	v_add_f16_e32 v43, v45, v57
	v_fmamk_f16 v45, v37, 0xbaee, v29
	v_fmac_f16_e32 v29, 0x3aee, v37
	v_add_f16_e32 v37, v38, v40
	v_pack_b32_f16 v30, v59, v30
	v_pack_b32_f16 v40, v62, v47
	;; [unrolled: 1-line block ×5, first 2 shown]
	v_fmamk_f16 v38, v41, 0x3aee, v72
	v_pack_b32_f16 v28, v28, v63
	v_fmac_f16_e32 v72, 0xbaee, v41
	v_pack_b32_f16 v32, v61, v32
	v_pack_b32_f16 v35, v46, v35
	ds_write2_b32 v114, v30, v40 offset1:39
	ds_write_b32 v114, v27 offset:312
	ds_write2_b32 v113, v31, v39 offset1:39
	ds_write_b32 v113, v28 offset:312
	ds_write2_b32 v110, v32, v35 offset1:39
	v_pack_b32_f16 v27, v33, v66
	v_pack_b32_f16 v28, v48, v34
	;; [unrolled: 1-line block ×7, first 2 shown]
	ds_write_b32 v110, v27 offset:312
	ds_write2_b32 v109, v28, v30 offset1:39
	ds_write_b32 v109, v31 offset:312
	ds_write2_b32 v108, v32, v33 offset1:39
	ds_write_b32 v108, v29 offset:312
	s_waitcnt lgkmcnt(0)
	s_barrier
	buffer_gl0_inv
	ds_read2_b32 v[27:28], v73 offset1:117
	ds_read2_b32 v[29:30], v24 offset0:84 offset1:201
	ds_read2_b32 v[31:32], v21 offset0:18 offset1:135
	;; [unrolled: 1-line block ×6, first 2 shown]
	ds_read_b32 v41, v73 offset:6552
	s_waitcnt lgkmcnt(0)
	s_barrier
	buffer_gl0_inv
	v_lshrrev_b32_e32 v42, 16, v27
	v_lshrrev_b32_e32 v43, 16, v30
	;; [unrolled: 1-line block ×4, first 2 shown]
	v_mul_f16_sdwa v65, v55, v30 dst_sel:DWORD dst_unused:UNUSED_PAD src0_sel:WORD_1 src1_sel:DWORD
	v_lshrrev_b32_e32 v47, 16, v32
	v_mul_f16_sdwa v63, v55, v43 dst_sel:DWORD dst_unused:UNUSED_PAD src0_sel:WORD_1 src1_sel:DWORD
	v_mul_f16_sdwa v67, v56, v44 dst_sel:DWORD dst_unused:UNUSED_PAD src0_sel:WORD_1 src1_sel:DWORD
	v_lshrrev_b32_e32 v57, 16, v34
	v_fma_f16 v43, v55, v43, -v65
	v_mul_f16_sdwa v65, v55, v46 dst_sel:DWORD dst_unused:UNUSED_PAD src0_sel:WORD_1 src1_sel:DWORD
	v_fmac_f16_e32 v63, v55, v30
	v_mul_f16_sdwa v30, v56, v31 dst_sel:DWORD dst_unused:UNUSED_PAD src0_sel:WORD_1 src1_sel:DWORD
	v_fmac_f16_e32 v67, v56, v31
	v_mul_f16_sdwa v31, v55, v33 dst_sel:DWORD dst_unused:UNUSED_PAD src0_sel:WORD_1 src1_sel:DWORD
	v_lshrrev_b32_e32 v58, 16, v37
	v_fmac_f16_e32 v65, v55, v33
	v_fma_f16 v30, v56, v44, -v30
	v_mul_f16_sdwa v44, v56, v47 dst_sel:DWORD dst_unused:UNUSED_PAD src0_sel:WORD_1 src1_sel:DWORD
	v_mul_f16_sdwa v33, v56, v32 dst_sel:DWORD dst_unused:UNUSED_PAD src0_sel:WORD_1 src1_sel:DWORD
	v_fma_f16 v31, v55, v46, -v31
	v_mul_f16_sdwa v46, v53, v57 dst_sel:DWORD dst_unused:UNUSED_PAD src0_sel:WORD_1 src1_sel:DWORD
	v_lshrrev_b32_e32 v60, 16, v39
	v_fmac_f16_e32 v44, v56, v32
	v_mul_f16_sdwa v32, v53, v34 dst_sel:DWORD dst_unused:UNUSED_PAD src0_sel:WORD_1 src1_sel:DWORD
	v_fma_f16 v33, v56, v47, -v33
	v_mul_f16_sdwa v47, v54, v58 dst_sel:DWORD dst_unused:UNUSED_PAD src0_sel:WORD_1 src1_sel:DWORD
	v_lshrrev_b32_e32 v61, 16, v38
	v_fmac_f16_e32 v46, v53, v34
	v_mul_f16_sdwa v34, v54, v37 dst_sel:DWORD dst_unused:UNUSED_PAD src0_sel:WORD_1 src1_sel:DWORD
	v_lshrrev_b32_e32 v64, 16, v40
	v_fma_f16 v32, v53, v57, -v32
	v_mul_f16_sdwa v53, v51, v60 dst_sel:DWORD dst_unused:UNUSED_PAD src0_sel:WORD_1 src1_sel:DWORD
	v_fmac_f16_e32 v47, v54, v37
	v_mul_f16_sdwa v37, v51, v39 dst_sel:DWORD dst_unused:UNUSED_PAD src0_sel:WORD_1 src1_sel:DWORD
	v_fma_f16 v34, v54, v58, -v34
	v_mul_f16_sdwa v54, v52, v61 dst_sel:DWORD dst_unused:UNUSED_PAD src0_sel:WORD_1 src1_sel:DWORD
	v_lshrrev_b32_e32 v66, 16, v41
	v_fmac_f16_e32 v53, v51, v39
	v_mul_f16_sdwa v39, v52, v38 dst_sel:DWORD dst_unused:UNUSED_PAD src0_sel:WORD_1 src1_sel:DWORD
	v_fma_f16 v37, v51, v60, -v37
	v_mul_f16_sdwa v51, v49, v64 dst_sel:DWORD dst_unused:UNUSED_PAD src0_sel:WORD_1 src1_sel:DWORD
	v_fmac_f16_e32 v54, v52, v38
	v_mul_f16_sdwa v38, v49, v40 dst_sel:DWORD dst_unused:UNUSED_PAD src0_sel:WORD_1 src1_sel:DWORD
	v_fma_f16 v39, v52, v61, -v39
	v_mul_f16_sdwa v52, v50, v66 dst_sel:DWORD dst_unused:UNUSED_PAD src0_sel:WORD_1 src1_sel:DWORD
	v_fmac_f16_e32 v51, v49, v40
	v_mul_f16_sdwa v40, v50, v41 dst_sel:DWORD dst_unused:UNUSED_PAD src0_sel:WORD_1 src1_sel:DWORD
	v_fma_f16 v38, v49, v64, -v38
	v_add_f16_e32 v49, v63, v67
	v_fmac_f16_e32 v52, v50, v41
	v_add_f16_e32 v41, v27, v63
	v_fma_f16 v40, v50, v66, -v40
	v_add_f16_e32 v50, v43, v30
	v_fma_f16 v27, -0.5, v49, v27
	v_sub_f16_e32 v49, v43, v30
	v_add_f16_e32 v43, v42, v43
	v_lshrrev_b32_e32 v45, 16, v28
	v_fmac_f16_e32 v42, -0.5, v50
	v_sub_f16_e32 v50, v63, v67
	v_fmamk_f16 v55, v49, 0xbaee, v27
	v_add_f16_e32 v30, v43, v30
	v_add_f16_e32 v43, v65, v44
	v_fmac_f16_e32 v27, 0x3aee, v49
	v_fmamk_f16 v49, v50, 0x3aee, v42
	v_add_f16_e32 v56, v28, v65
	v_fmac_f16_e32 v42, 0xbaee, v50
	v_add_f16_e32 v50, v31, v33
	v_fmac_f16_e32 v28, -0.5, v43
	v_sub_f16_e32 v43, v31, v33
	v_add_f16_e32 v31, v45, v31
	v_add_f16_e32 v56, v56, v44
	v_fmac_f16_e32 v45, -0.5, v50
	v_sub_f16_e32 v44, v65, v44
	v_lshrrev_b32_e32 v48, 16, v35
	v_add_f16_e32 v31, v31, v33
	v_add_f16_e32 v33, v46, v47
	v_fmamk_f16 v50, v43, 0xbaee, v28
	v_fmac_f16_e32 v28, 0x3aee, v43
	v_fmamk_f16 v43, v44, 0x3aee, v45
	v_fmac_f16_e32 v45, 0xbaee, v44
	v_add_f16_e32 v44, v32, v34
	v_add_f16_e32 v57, v35, v46
	v_fma_f16 v33, -0.5, v33, v35
	v_sub_f16_e32 v35, v32, v34
	v_add_f16_e32 v32, v48, v32
	v_fmac_f16_e32 v48, -0.5, v44
	v_sub_f16_e32 v44, v46, v47
	v_lshrrev_b32_e32 v59, 16, v36
	v_fmamk_f16 v46, v35, 0xbaee, v33
	v_add_f16_e32 v32, v32, v34
	v_add_f16_e32 v34, v53, v54
	v_fmac_f16_e32 v33, 0x3aee, v35
	v_fmamk_f16 v35, v44, 0x3aee, v48
	v_fmac_f16_e32 v48, 0xbaee, v44
	v_add_f16_e32 v44, v37, v39
	v_add_f16_e32 v57, v57, v47
	;; [unrolled: 1-line block ×3, first 2 shown]
	v_fmac_f16_e32 v36, -0.5, v34
	v_sub_f16_e32 v34, v37, v39
	v_add_f16_e32 v37, v59, v37
	v_fmac_f16_e32 v59, -0.5, v44
	v_sub_f16_e32 v44, v53, v54
	v_lshrrev_b32_e32 v62, 16, v29
	v_fmamk_f16 v53, v34, 0xbaee, v36
	v_fmac_f16_e32 v36, 0x3aee, v34
	v_add_f16_e32 v34, v37, v39
	v_add_f16_e32 v37, v51, v52
	v_fmamk_f16 v39, v44, 0x3aee, v59
	v_fmac_f16_e32 v59, 0xbaee, v44
	v_add_f16_e32 v44, v38, v40
	v_add_f16_e32 v41, v41, v67
	;; [unrolled: 1-line block ×4, first 2 shown]
	v_fmac_f16_e32 v29, -0.5, v37
	v_sub_f16_e32 v37, v38, v40
	v_add_f16_e32 v38, v62, v38
	v_fmac_f16_e32 v62, -0.5, v44
	v_sub_f16_e32 v44, v51, v52
	v_add_f16_e32 v51, v54, v52
	v_fmamk_f16 v52, v37, 0xbaee, v29
	v_fmac_f16_e32 v29, 0x3aee, v37
	v_add_f16_e32 v37, v38, v40
	v_pack_b32_f16 v30, v41, v30
	v_pack_b32_f16 v40, v55, v49
	;; [unrolled: 1-line block ×6, first 2 shown]
	v_fmamk_f16 v38, v44, 0x3aee, v62
	v_pack_b32_f16 v32, v57, v32
	v_pack_b32_f16 v35, v46, v35
	v_add_nc_u32_e32 v42, 0xa00, v107
	v_fmac_f16_e32 v62, 0xbaee, v44
	ds_write2_b32 v73, v30, v40 offset1:117
	ds_write2_b32 v26, v27, v31 offset0:106 offset1:223
	ds_write2_b32 v24, v41, v28 offset0:84 offset1:201
	;; [unrolled: 1-line block ×3, first 2 shown]
	v_pack_b32_f16 v27, v33, v48
	v_pack_b32_f16 v28, v47, v34
	;; [unrolled: 1-line block ×3, first 2 shown]
	v_add_nc_u32_e32 v31, 0x1000, v111
	v_pack_b32_f16 v32, v36, v59
	v_pack_b32_f16 v33, v51, v37
	;; [unrolled: 1-line block ×3, first 2 shown]
	v_add_nc_u32_e32 v35, 0x1400, v112
	v_pack_b32_f16 v29, v29, v62
	ds_write_b32 v107, v27 offset:3744
	ds_write2_b32 v31, v28, v30 offset0:29 offset1:146
	ds_write_b32 v111, v32 offset:5148
	ds_write2_b32 v35, v33, v34 offset0:124 offset1:241
	ds_write_b32 v112, v29 offset:6552
	s_waitcnt lgkmcnt(0)
	s_barrier
	buffer_gl0_inv
	ds_read2_b32 v[27:28], v73 offset1:117
	ds_read2_b32 v[29:30], v26 offset0:106 offset1:223
	ds_read2_b32 v[31:32], v23 offset0:62 offset1:179
	;; [unrolled: 1-line block ×6, first 2 shown]
	ds_read_b32 v41, v73 offset:6552
	s_waitcnt lgkmcnt(7)
	v_lshrrev_b32_e32 v42, 16, v27
	s_waitcnt lgkmcnt(6)
	v_lshrrev_b32_e32 v43, 16, v30
	;; [unrolled: 2-line block ×6, first 2 shown]
	v_mul_f16_sdwa v57, v8, v43 dst_sel:DWORD dst_unused:UNUSED_PAD src0_sel:WORD_1 src1_sel:DWORD
	v_lshrrev_b32_e32 v49, 16, v32
	v_mul_f16_sdwa v58, v8, v30 dst_sel:DWORD dst_unused:UNUSED_PAD src0_sel:WORD_1 src1_sel:DWORD
	v_mul_f16_sdwa v59, v9, v44 dst_sel:DWORD dst_unused:UNUSED_PAD src0_sel:WORD_1 src1_sel:DWORD
	;; [unrolled: 1-line block ×4, first 2 shown]
	v_fmac_f16_e32 v57, v8, v30
	v_mul_f16_sdwa v30, v10, v34 dst_sel:DWORD dst_unused:UNUSED_PAD src0_sel:WORD_1 src1_sel:DWORD
	s_waitcnt lgkmcnt(1)
	v_lshrrev_b32_e32 v50, 16, v39
	v_lshrrev_b32_e32 v51, 16, v36
	v_fma_f16 v8, v8, v43, -v58
	v_fmac_f16_e32 v59, v9, v31
	v_fma_f16 v9, v9, v44, -v60
	v_fmac_f16_e32 v61, v10, v34
	v_mul_f16_sdwa v31, v11, v46 dst_sel:DWORD dst_unused:UNUSED_PAD src0_sel:WORD_1 src1_sel:DWORD
	v_mul_f16_sdwa v34, v11, v35 dst_sel:DWORD dst_unused:UNUSED_PAD src0_sel:WORD_1 src1_sel:DWORD
	;; [unrolled: 1-line block ×4, first 2 shown]
	v_fma_f16 v10, v10, v45, -v30
	v_mul_f16_sdwa v30, v5, v49 dst_sel:DWORD dst_unused:UNUSED_PAD src0_sel:WORD_1 src1_sel:DWORD
	v_lshrrev_b32_e32 v53, 16, v38
	v_lshrrev_b32_e32 v54, 16, v33
	v_fmac_f16_e32 v31, v11, v35
	v_fma_f16 v11, v11, v46, -v34
	v_fmac_f16_e32 v43, v4, v37
	v_fma_f16 v4, v4, v48, -v44
	v_mul_f16_sdwa v34, v5, v32 dst_sel:DWORD dst_unused:UNUSED_PAD src0_sel:WORD_1 src1_sel:DWORD
	v_mul_f16_sdwa v35, v6, v50 dst_sel:DWORD dst_unused:UNUSED_PAD src0_sel:WORD_1 src1_sel:DWORD
	;; [unrolled: 1-line block ×4, first 2 shown]
	v_fmac_f16_e32 v30, v5, v32
	v_mul_f16_sdwa v32, v7, v36 dst_sel:DWORD dst_unused:UNUSED_PAD src0_sel:WORD_1 src1_sel:DWORD
	v_lshrrev_b32_e32 v55, 16, v40
	v_fma_f16 v5, v5, v49, -v34
	v_fmac_f16_e32 v35, v6, v39
	v_fma_f16 v6, v6, v50, -v37
	v_fmac_f16_e32 v44, v7, v36
	v_mul_f16_sdwa v34, v0, v53 dst_sel:DWORD dst_unused:UNUSED_PAD src0_sel:WORD_1 src1_sel:DWORD
	v_mul_f16_sdwa v36, v0, v38 dst_sel:DWORD dst_unused:UNUSED_PAD src0_sel:WORD_1 src1_sel:DWORD
	;; [unrolled: 1-line block ×4, first 2 shown]
	v_fma_f16 v7, v7, v51, -v32
	v_add_f16_e32 v32, v59, v61
	s_waitcnt lgkmcnt(0)
	v_lshrrev_b32_e32 v56, 16, v41
	v_fmac_f16_e32 v34, v0, v38
	v_fma_f16 v0, v0, v53, -v36
	v_fmac_f16_e32 v37, v1, v33
	v_fma_f16 v1, v1, v54, -v39
	v_mul_f16_sdwa v33, v2, v55 dst_sel:DWORD dst_unused:UNUSED_PAD src0_sel:WORD_1 src1_sel:DWORD
	v_mul_f16_sdwa v36, v2, v40 dst_sel:DWORD dst_unused:UNUSED_PAD src0_sel:WORD_1 src1_sel:DWORD
	v_add_f16_e32 v39, v27, v57
	v_fma_f16 v32, -0.5, v32, v27
	v_sub_f16_e32 v45, v8, v11
	v_mul_f16_sdwa v38, v3, v56 dst_sel:DWORD dst_unused:UNUSED_PAD src0_sel:WORD_1 src1_sel:DWORD
	v_fmac_f16_e32 v33, v2, v40
	v_fma_f16 v2, v2, v55, -v36
	v_add_f16_e32 v36, v39, v59
	v_fmamk_f16 v39, v45, 0xbb9c, v32
	v_sub_f16_e32 v40, v9, v10
	v_sub_f16_e32 v46, v57, v59
	;; [unrolled: 1-line block ×3, first 2 shown]
	v_add_f16_e32 v49, v57, v31
	v_fmac_f16_e32 v32, 0x3b9c, v45
	v_fmac_f16_e32 v38, v3, v41
	v_mul_f16_sdwa v41, v3, v41 dst_sel:DWORD dst_unused:UNUSED_PAD src0_sel:WORD_1 src1_sel:DWORD
	v_add_f16_e32 v36, v36, v61
	v_fmac_f16_e32 v39, 0xb8b4, v40
	v_add_f16_e32 v46, v46, v48
	v_fma_f16 v27, -0.5, v49, v27
	v_sub_f16_e32 v48, v59, v57
	v_sub_f16_e32 v49, v61, v31
	v_fmac_f16_e32 v32, 0x38b4, v40
	v_add_f16_e32 v50, v42, v8
	v_add_f16_e32 v51, v9, v10
	v_fma_f16 v3, v3, v56, -v41
	v_add_f16_e32 v36, v36, v31
	v_fmac_f16_e32 v39, 0x34f2, v46
	v_fmamk_f16 v41, v40, 0x3b9c, v27
	v_add_f16_e32 v48, v48, v49
	v_fmac_f16_e32 v27, 0xbb9c, v40
	v_add_f16_e32 v40, v50, v9
	v_fma_f16 v49, -0.5, v51, v42
	v_sub_f16_e32 v31, v57, v31
	v_fmac_f16_e32 v32, 0x34f2, v46
	v_add_f16_e32 v46, v8, v11
	v_sub_f16_e32 v51, v8, v9
	v_sub_f16_e32 v8, v9, v8
	;; [unrolled: 1-line block ×3, first 2 shown]
	v_fmac_f16_e32 v41, 0xb8b4, v45
	v_fmac_f16_e32 v27, 0x38b4, v45
	v_add_f16_e32 v40, v40, v10
	v_fmamk_f16 v45, v31, 0x3b9c, v49
	v_sub_f16_e32 v50, v59, v61
	v_sub_f16_e32 v53, v11, v10
	v_fmac_f16_e32 v42, -0.5, v46
	v_fmac_f16_e32 v49, 0xbb9c, v31
	v_add_f16_e32 v10, v30, v35
	v_add_f16_e32 v8, v8, v9
	;; [unrolled: 1-line block ×3, first 2 shown]
	v_lshrrev_b32_e32 v47, 16, v28
	v_fmac_f16_e32 v41, 0x34f2, v48
	v_fmac_f16_e32 v27, 0x34f2, v48
	v_add_f16_e32 v40, v40, v11
	v_fmac_f16_e32 v45, 0x38b4, v50
	v_add_f16_e32 v46, v51, v53
	v_fmamk_f16 v48, v50, 0xbb9c, v42
	v_fmac_f16_e32 v49, 0xb8b4, v50
	v_fma_f16 v10, -0.5, v10, v28
	v_sub_f16_e32 v11, v4, v7
	v_fmac_f16_e32 v42, 0x3b9c, v50
	v_add_f16_e32 v9, v9, v30
	v_sub_f16_e32 v51, v43, v30
	v_sub_f16_e32 v53, v44, v35
	v_add_f16_e32 v54, v43, v44
	v_fmac_f16_e32 v45, 0x34f2, v46
	v_fmac_f16_e32 v48, 0x38b4, v31
	;; [unrolled: 1-line block ×3, first 2 shown]
	v_fmamk_f16 v46, v11, 0xbb9c, v10
	v_sub_f16_e32 v50, v5, v6
	v_fmac_f16_e32 v42, 0xb8b4, v31
	v_add_f16_e32 v9, v9, v35
	v_add_f16_e32 v31, v51, v53
	v_fmac_f16_e32 v28, -0.5, v54
	v_fmac_f16_e32 v10, 0x3b9c, v11
	v_sub_f16_e32 v51, v30, v43
	v_sub_f16_e32 v53, v35, v44
	v_add_f16_e32 v54, v47, v4
	v_add_f16_e32 v55, v5, v6
	v_fmac_f16_e32 v48, 0x34f2, v8
	v_fmac_f16_e32 v46, 0xb8b4, v50
	;; [unrolled: 1-line block ×3, first 2 shown]
	v_add_f16_e32 v8, v9, v44
	v_fmamk_f16 v9, v50, 0x3b9c, v28
	v_fmac_f16_e32 v10, 0x38b4, v50
	v_add_f16_e32 v51, v51, v53
	v_fmac_f16_e32 v28, 0xbb9c, v50
	v_add_f16_e32 v50, v54, v5
	v_fma_f16 v53, -0.5, v55, v47
	v_sub_f16_e32 v43, v43, v44
	v_add_f16_e32 v44, v4, v7
	v_fmac_f16_e32 v46, 0x34f2, v31
	v_fmac_f16_e32 v9, 0xb8b4, v11
	;; [unrolled: 1-line block ×4, first 2 shown]
	v_add_f16_e32 v11, v50, v6
	v_fmamk_f16 v31, v43, 0x3b9c, v53
	v_sub_f16_e32 v30, v30, v35
	v_sub_f16_e32 v35, v4, v5
	;; [unrolled: 1-line block ×3, first 2 shown]
	v_fmac_f16_e32 v47, -0.5, v44
	v_fmac_f16_e32 v53, 0xbb9c, v43
	v_sub_f16_e32 v4, v5, v4
	v_sub_f16_e32 v5, v6, v7
	v_add_f16_e32 v6, v37, v33
	v_add_f16_e32 v11, v11, v7
	v_fmac_f16_e32 v31, 0x38b4, v30
	v_add_f16_e32 v35, v35, v50
	v_fmamk_f16 v44, v30, 0xbb9c, v47
	v_fmac_f16_e32 v53, 0xb8b4, v30
	v_add_f16_e32 v4, v4, v5
	v_fmac_f16_e32 v47, 0x3b9c, v30
	v_add_f16_e32 v5, v29, v34
	v_fma_f16 v6, -0.5, v6, v29
	v_sub_f16_e32 v7, v0, v3
	v_fmac_f16_e32 v9, 0x34f2, v51
	v_fmac_f16_e32 v28, 0x34f2, v51
	;; [unrolled: 1-line block ×6, first 2 shown]
	v_add_f16_e32 v5, v5, v37
	v_fmamk_f16 v30, v7, 0xbb9c, v6
	v_sub_f16_e32 v35, v1, v2
	v_sub_f16_e32 v43, v34, v37
	;; [unrolled: 1-line block ×3, first 2 shown]
	v_fmac_f16_e32 v6, 0x3b9c, v7
	v_add_f16_e32 v51, v34, v38
	v_lshrrev_b32_e32 v52, 16, v29
	v_add_f16_e32 v5, v5, v33
	v_fmac_f16_e32 v30, 0xb8b4, v35
	v_add_f16_e32 v43, v43, v50
	v_fmac_f16_e32 v6, 0x38b4, v35
	v_fmac_f16_e32 v29, -0.5, v51
	v_sub_f16_e32 v50, v37, v34
	v_sub_f16_e32 v51, v33, v38
	v_fmac_f16_e32 v44, 0x34f2, v4
	v_fmac_f16_e32 v47, 0x34f2, v4
	v_add_f16_e32 v4, v5, v38
	v_fmac_f16_e32 v30, 0x34f2, v43
	v_fmac_f16_e32 v6, 0x34f2, v43
	v_fmamk_f16 v5, v35, 0x3b9c, v29
	v_add_f16_e32 v43, v1, v2
	v_fmac_f16_e32 v29, 0xbb9c, v35
	v_sub_f16_e32 v34, v34, v38
	v_add_f16_e32 v38, v50, v51
	v_add_f16_e32 v50, v0, v3
	;; [unrolled: 1-line block ×3, first 2 shown]
	v_fma_f16 v43, -0.5, v43, v52
	v_fmac_f16_e32 v5, 0xb8b4, v7
	v_fmac_f16_e32 v29, 0x38b4, v7
	v_sub_f16_e32 v33, v37, v33
	v_fmac_f16_e32 v52, -0.5, v50
	v_add_f16_e32 v7, v35, v1
	v_fmamk_f16 v35, v34, 0x3b9c, v43
	v_fmac_f16_e32 v5, 0x34f2, v38
	v_fmac_f16_e32 v29, 0x34f2, v38
	v_sub_f16_e32 v37, v0, v1
	v_sub_f16_e32 v38, v3, v2
	v_fmamk_f16 v50, v33, 0xbb9c, v52
	v_sub_f16_e32 v0, v1, v0
	v_sub_f16_e32 v1, v2, v3
	v_fmac_f16_e32 v52, 0x3b9c, v33
	v_fmac_f16_e32 v43, 0xbb9c, v34
	v_add_f16_e32 v7, v7, v2
	v_fmac_f16_e32 v35, 0x38b4, v33
	v_add_f16_e32 v2, v37, v38
	;; [unrolled: 2-line block ×3, first 2 shown]
	v_fmac_f16_e32 v52, 0xb8b4, v34
	v_fmac_f16_e32 v43, 0xb8b4, v33
	v_add_f16_e32 v1, v7, v3
	v_fmac_f16_e32 v35, 0x34f2, v2
	v_fmac_f16_e32 v50, 0x34f2, v0
	v_fmac_f16_e32 v52, 0x34f2, v0
	v_pack_b32_f16 v0, v36, v40
	v_pack_b32_f16 v7, v8, v11
	;; [unrolled: 1-line block ×4, first 2 shown]
	v_fmac_f16_e32 v43, 0x34f2, v2
	v_pack_b32_f16 v2, v39, v45
	v_pack_b32_f16 v11, v32, v49
	;; [unrolled: 1-line block ×4, first 2 shown]
	ds_write2_b32 v73, v0, v7 offset1:117
	v_pack_b32_f16 v0, v46, v31
	v_pack_b32_f16 v4, v30, v35
	;; [unrolled: 1-line block ×4, first 2 shown]
	ds_write2_b32 v23, v3, v9 offset0:62 offset1:179
	v_pack_b32_f16 v3, v28, v47
	v_pack_b32_f16 v7, v29, v52
	;; [unrolled: 1-line block ×3, first 2 shown]
	ds_write2_b32 v25, v11, v10 offset0:124 offset1:241
	ds_write2_b32 v26, v1, v2 offset0:106 offset1:223
	;; [unrolled: 1-line block ×5, first 2 shown]
	ds_write_b32 v73, v6 offset:6552
	s_waitcnt lgkmcnt(0)
	s_barrier
	buffer_gl0_inv
	ds_read2_b32 v[0:1], v73 offset1:135
	s_waitcnt lgkmcnt(0)
	v_lshrrev_b32_e32 v4, 16, v0
	v_lshrrev_b32_e32 v26, 16, v1
	v_mul_f16_sdwa v2, v87, v4 dst_sel:DWORD dst_unused:UNUSED_PAD src0_sel:WORD_1 src1_sel:DWORD
	v_mul_f16_sdwa v9, v86, v26 dst_sel:DWORD dst_unused:UNUSED_PAD src0_sel:WORD_1 src1_sel:DWORD
	v_fmac_f16_e32 v2, v87, v0
	v_mul_f16_sdwa v0, v87, v0 dst_sel:DWORD dst_unused:UNUSED_PAD src0_sel:WORD_1 src1_sel:DWORD
	v_fmac_f16_e32 v9, v86, v1
	v_cvt_f32_f16_e32 v2, v2
	v_fma_f16 v0, v87, v4, -v0
	v_cvt_f32_f16_e32 v9, v9
	v_cvt_f64_f32_e32 v[2:3], v2
	v_cvt_f32_f16_e32 v0, v0
	v_cvt_f64_f32_e32 v[4:5], v0
	v_mul_f64 v[2:3], v[2:3], s[4:5]
	v_mul_f64 v[4:5], v[4:5], s[4:5]
	v_and_or_b32 v0, 0x1ff, v3, v2
	v_lshrrev_b32_e32 v2, 8, v3
	v_bfe_u32 v6, v3, 20, 11
	v_lshrrev_b32_e32 v3, 16, v3
	v_cmp_ne_u32_e64 s0, 0, v0
	v_and_or_b32 v4, 0x1ff, v5, v4
	v_lshrrev_b32_e32 v8, 8, v5
	v_bfe_u32 v11, v5, 20, 11
	v_add_nc_u32_e32 v27, 0xfffffc10, v6
	v_cndmask_b32_e64 v0, 0, 1, s0
	v_cmp_ne_u32_e64 s0, 0, v4
	v_lshrrev_b32_e32 v5, 16, v5
	v_add_nc_u32_e32 v32, 0xfffffc10, v11
	v_and_or_b32 v2, 0xffe, v2, v0
	v_sub_nc_u32_e32 v0, 0x3f1, v6
	v_cndmask_b32_e64 v4, 0, 1, s0
	v_cmp_gt_i32_e64 s2, 1, v32
	v_or_b32_e32 v7, 0x1000, v2
	v_med3_i32 v0, v0, 0, 13
	v_and_or_b32 v4, 0xffe, v8, v4
	v_sub_nc_u32_e32 v8, 0x3f1, v11
	v_lshrrev_b32_e32 v10, v0, v7
	v_or_b32_e32 v28, 0x1000, v4
	v_med3_i32 v29, v8, 0, 13
	v_cvt_f64_f32_e32 v[8:9], v9
	v_lshlrev_b32_e32 v0, v0, v10
	v_lshrrev_b32_e32 v30, v29, v28
	v_cmp_ne_u32_e64 s0, v0, v7
	v_mad_u64_u32 v[6:7], null, s10, v20, 0
	v_cndmask_b32_e64 v0, 0, 1, s0
	v_cmp_gt_i32_e64 s0, 1, v27
	v_or_b32_e32 v0, v10, v0
	v_lshl_or_b32 v10, v27, 12, v2
	v_cndmask_b32_e64 v31, v10, v0, s0
	v_lshlrev_b32_e32 v10, v29, v30
	v_mov_b32_e32 v0, v7
	v_and_b32_e32 v7, 7, v31
	v_cmp_ne_u32_e64 s0, v10, v28
	v_mad_u64_u32 v[10:11], null, s11, v20, v[0:1]
	v_mul_f16_sdwa v20, v86, v1 dst_sel:DWORD dst_unused:UNUSED_PAD src0_sel:WORD_1 src1_sel:DWORD
	v_cmp_eq_u32_e64 s1, 3, v7
	v_cndmask_b32_e64 v28, 0, 1, s0
	v_cmp_lt_i32_e64 s0, 5, v7
	v_lshrrev_b32_e32 v7, 2, v31
	v_mul_f64 v[0:1], v[8:9], s[4:5]
	v_fma_f16 v8, v86, v26, -v20
	v_or_b32_e32 v11, v30, v28
	v_lshl_or_b32 v28, v32, 12, v4
	s_or_b32 s0, s1, s0
	v_add_nc_u32_e32 v26, 0x400, v73
	v_add_co_ci_u32_e64 v7, s0, 0, v7, s0
	v_cndmask_b32_e64 v9, v28, v11, s2
	v_cmp_ne_u32_e64 s0, 0, v2
	v_cvt_f32_f16_e32 v8, v8
	v_cmp_eq_u32_e64 s2, 0x40f, v27
	v_mad_u64_u32 v[28:29], null, s8, v85, 0
	v_cndmask_b32_e64 v2, 0, 1, s0
	v_and_b32_e32 v11, 7, v9
	v_cmp_gt_i32_e64 s0, 31, v27
	v_lshrrev_b32_e32 v9, 2, v9
	ds_read2_b32 v[26:27], v26 offset0:14 offset1:149
	v_lshl_or_b32 v2, v2, 9, 0x7c00
	v_cmp_eq_u32_e64 s1, 3, v11
	v_cndmask_b32_e64 v20, 0x7c00, v7, s0
	v_cmp_lt_i32_e64 s0, 5, v11
	v_cvt_f64_f32_e32 v[7:8], v8
	v_and_or_b32 v0, 0x1ff, v1, v0
	v_lshrrev_b32_e32 v11, 8, v1
	v_bfe_u32 v30, v1, 20, 11
	s_or_b32 s0, s1, s0
	v_cndmask_b32_e64 v2, v20, v2, s2
	v_add_co_ci_u32_e64 v9, s0, 0, v9, s0
	v_cmp_ne_u32_e64 s0, 0, v4
	v_cndmask_b32_e64 v4, 0, 1, s0
	v_cmp_ne_u32_e64 s0, 0, v0
	v_lshl_or_b32 v4, v4, 9, 0x7c00
	v_cndmask_b32_e64 v0, 0, 1, s0
	v_cmp_gt_i32_e64 s0, 31, v32
	v_and_or_b32 v11, 0xffe, v11, v0
	v_cndmask_b32_e64 v20, 0x7c00, v9, s0
	v_mul_f64 v[8:9], v[7:8], s[4:5]
	v_sub_nc_u32_e32 v0, 0x3f1, v30
	v_cmp_eq_u32_e64 s0, 0x40f, v32
	v_or_b32_e32 v31, 0x1000, v11
	v_mov_b32_e32 v7, v10
	v_med3_i32 v33, v0, 0, 13
	v_mov_b32_e32 v0, v29
	v_cndmask_b32_e64 v4, v20, v4, s0
	v_and_or_b32 v20, 0x8000, v3, v2
	v_lshrrev_b32_e32 v10, v33, v31
	v_mad_u64_u32 v[2:3], null, s9, v85, v[0:1]
	v_and_or_b32 v32, 0x8000, v5, v4
	v_lshlrev_b64 v[3:4], 2, v[6:7]
	v_lshlrev_b32_e32 v0, v33, v10
	s_waitcnt lgkmcnt(0)
	v_lshrrev_b32_e32 v7, 16, v26
	v_and_b32_e32 v20, 0xffff, v20
	v_cmp_ne_u32_e64 s0, v0, v31
	v_and_or_b32 v5, 0x1ff, v9, v8
	v_mul_f16_sdwa v6, v84, v7 dst_sel:DWORD dst_unused:UNUSED_PAD src0_sel:WORD_1 src1_sel:DWORD
	v_add_nc_u32_e32 v8, 0xfffffc10, v30
	v_lshrrev_b32_e32 v29, 8, v9
	v_cndmask_b32_e64 v0, 0, 1, s0
	v_cmp_ne_u32_e64 s0, 0, v5
	v_bfe_u32 v30, v9, 20, 11
	v_fmac_f16_e32 v6, v84, v26
	v_lshl_or_b32 v20, v32, 16, v20
	v_or_b32_e32 v0, v10, v0
	v_cndmask_b32_e64 v5, 0, 1, s0
	v_lshl_or_b32 v10, v8, 12, v11
	v_cvt_f32_f16_e32 v6, v6
	v_cmp_gt_i32_e64 s0, 1, v8
	v_mul_f16_sdwa v26, v84, v26 dst_sel:DWORD dst_unused:UNUSED_PAD src0_sel:WORD_1 src1_sel:DWORD
	v_and_or_b32 v31, 0xffe, v29, v5
	v_sub_nc_u32_e32 v5, 0x3f1, v30
	v_mov_b32_e32 v29, v2
	v_cndmask_b32_e64 v0, v10, v0, s0
	v_add_co_u32 v35, s0, s6, v3
	v_med3_i32 v33, v5, 0, 13
	v_cvt_f64_f32_e32 v[5:6], v6
	v_or_b32_e32 v10, 0x1000, v31
	v_and_b32_e32 v32, 7, v0
	v_add_co_ci_u32_e64 v36, s0, s7, v4, s0
	v_lshrrev_b32_e32 v0, 2, v0
	v_lshrrev_b32_e32 v34, v33, v10
	v_cmp_lt_i32_e64 s0, 5, v32
	v_cmp_eq_u32_e64 s1, 3, v32
	v_lshlrev_b64 v[2:3], 2, v[28:29]
	v_add_nc_u32_e32 v28, 0xfffffc10, v30
	v_lshlrev_b32_e32 v4, v33, v34
	v_fma_f16 v7, v84, v7, -v26
	s_or_b32 s0, s1, s0
	v_lshrrev_b32_e32 v30, 16, v27
	v_add_co_ci_u32_e64 v0, s0, 0, v0, s0
	v_cmp_ne_u32_e64 s2, v4, v10
	v_cmp_ne_u32_e64 s0, 0, v11
	v_cvt_f32_f16_e32 v7, v7
	v_lshrrev_b32_e32 v9, 16, v9
	v_cndmask_b32_e64 v10, 0, 1, s2
	v_mul_f64 v[4:5], v[5:6], s[4:5]
	v_cndmask_b32_e64 v11, 0, 1, s0
	v_cmp_gt_i32_e64 s0, 1, v28
	v_cmp_eq_u32_e64 s2, 0x40f, v8
	v_or_b32_e32 v6, v34, v10
	v_lshl_or_b32 v10, v28, 12, v31
	v_lshl_or_b32 v11, v11, 9, 0x7c00
	v_cndmask_b32_e64 v10, v10, v6, s0
	v_cmp_gt_i32_e64 s0, 31, v8
	v_cvt_f64_f32_e32 v[6:7], v7
	v_and_b32_e32 v26, 7, v10
	v_cndmask_b32_e64 v0, 0x7c00, v0, s0
	v_add_co_u32 v2, s0, v35, v2
	v_add_co_ci_u32_e64 v3, s0, v36, v3, s0
	v_cmp_lt_i32_e64 s0, 5, v26
	v_cmp_eq_u32_e64 s1, 3, v26
	v_cndmask_b32_e64 v8, v0, v11, s2
	v_lshrrev_b32_e32 v0, 2, v10
	v_and_or_b32 v4, 0x1ff, v5, v4
	v_lshrrev_b32_e32 v26, 8, v5
	s_or_b32 s0, s1, s0
	v_bfe_u32 v29, v5, 20, 11
	v_add_co_ci_u32_e64 v11, s0, 0, v0, s0
	v_cmp_ne_u32_e64 s0, 0, v4
	v_lshrrev_b32_e32 v10, 16, v1
	global_store_dword v[2:3], v20, off
	v_mul_f64 v[0:1], v[6:7], s[4:5]
	v_sub_nc_u32_e32 v7, 0x3f1, v29
	v_cndmask_b32_e64 v4, 0, 1, s0
	v_cmp_ne_u32_e64 s0, 0, v31
	v_mul_f16_sdwa v20, v83, v30 dst_sel:DWORD dst_unused:UNUSED_PAD src0_sel:WORD_1 src1_sel:DWORD
	v_and_or_b32 v8, 0x8000, v10, v8
	v_med3_i32 v7, v7, 0, 13
	v_and_or_b32 v4, 0xffe, v26, v4
	v_cndmask_b32_e64 v6, 0, 1, s0
	v_cmp_gt_i32_e64 s0, 31, v28
	v_fmac_f16_e32 v20, v83, v27
	v_and_b32_e32 v8, 0xffff, v8
	v_or_b32_e32 v26, 0x1000, v4
	v_lshl_or_b32 v6, v6, 9, 0x7c00
	v_cndmask_b32_e64 v11, 0x7c00, v11, s0
	v_cmp_eq_u32_e64 s0, 0x40f, v28
	s_mul_i32 s1, s9, 0x87
	s_mul_hi_u32 s2, s8, 0x87
	v_lshrrev_b32_e32 v5, 16, v5
	s_add_i32 s1, s2, s1
	v_cndmask_b32_e64 v6, v11, v6, s0
	v_lshrrev_b32_e32 v11, v7, v26
	v_and_or_b32 v0, 0x1ff, v1, v0
	v_bfe_u32 v28, v1, 20, 11
	v_and_or_b32 v9, 0x8000, v9, v6
	v_lshlrev_b32_e32 v6, v7, v11
	v_cmp_ne_u32_e64 s0, v6, v26
	v_cvt_f32_f16_e32 v6, v20
	v_add_nc_u32_e32 v20, 0xfffffc10, v29
	v_lshrrev_b32_e32 v26, 8, v1
	v_lshl_or_b32 v29, v9, 16, v8
	v_cndmask_b32_e64 v10, 0, 1, s0
	v_cmp_ne_u32_e64 s0, 0, v0
	v_cvt_f64_f32_e32 v[6:7], v6
	v_or_b32_e32 v10, v11, v10
	v_cndmask_b32_e64 v0, 0, 1, s0
	v_lshl_or_b32 v11, v20, 12, v4
	v_cmp_gt_i32_e64 s0, 1, v20
	v_and_or_b32 v0, 0xffe, v26, v0
	v_sub_nc_u32_e32 v26, 0x3f1, v28
	v_cndmask_b32_e64 v10, v11, v10, s0
	s_mul_i32 s0, s8, 0x87
	v_or_b32_e32 v11, 0x1000, v0
	v_med3_i32 v26, v26, 0, 13
	s_lshl_b64 s[6:7], s[0:1], 2
	v_and_b32_e32 v8, 7, v10
	v_add_co_u32 v2, s0, v2, s6
	v_lshrrev_b32_e32 v9, v26, v11
	v_add_co_ci_u32_e64 v3, s0, s7, v3, s0
	v_mul_f64 v[6:7], v[6:7], s[4:5]
	v_cmp_lt_i32_e64 s0, 5, v8
	v_lshlrev_b32_e32 v26, v26, v9
	v_cmp_eq_u32_e64 s1, 3, v8
	v_mul_f16_sdwa v8, v83, v27 dst_sel:DWORD dst_unused:UNUSED_PAD src0_sel:WORD_1 src1_sel:DWORD
	v_lshrrev_b32_e32 v10, 2, v10
	v_add_nc_u32_e32 v27, 0x800, v73
	v_cmp_ne_u32_e64 s2, v26, v11
	s_or_b32 s0, s1, s0
	v_fma_f16 v8, v83, v30, -v8
	v_add_nc_u32_e32 v26, 0xfffffc10, v28
	v_add_co_ci_u32_e64 v28, s0, 0, v10, s0
	v_cndmask_b32_e64 v11, 0, 1, s2
	v_cvt_f32_f16_e32 v10, v8
	v_cmp_ne_u32_e64 s0, 0, v4
	v_lshl_or_b32 v31, v26, 12, v0
	global_store_dword v[2:3], v29, off
	v_or_b32_e32 v30, v9, v11
	v_cvt_f64_f32_e32 v[10:11], v10
	v_cndmask_b32_e64 v4, 0, 1, s0
	v_cmp_gt_i32_e64 s0, 1, v26
	ds_read2_b32 v[8:9], v27 offset0:28 offset1:163
	v_and_or_b32 v6, 0x1ff, v7, v6
	v_bfe_u32 v32, v7, 20, 11
	v_lshl_or_b32 v4, v4, 9, 0x7c00
	v_cndmask_b32_e64 v27, v31, v30, s0
	v_cmp_gt_i32_e64 s0, 31, v20
	v_lshrrev_b32_e32 v31, 8, v7
	v_and_b32_e32 v30, 7, v27
	v_cndmask_b32_e64 v28, 0x7c00, v28, s0
	v_cmp_ne_u32_e64 s0, 0, v6
	v_lshrrev_b32_e32 v27, 2, v27
	v_cmp_eq_u32_e64 s1, 3, v30
	v_cndmask_b32_e64 v6, 0, 1, s0
	v_cmp_eq_u32_e64 s0, 0x40f, v20
	v_sub_nc_u32_e32 v20, 0x3f1, v32
	v_mul_f64 v[10:11], v[10:11], s[4:5]
	v_and_or_b32 v6, 0xffe, v31, v6
	v_cndmask_b32_e64 v4, v28, v4, s0
	v_cmp_lt_i32_e64 s0, 5, v30
	v_med3_i32 v20, v20, 0, 13
	s_waitcnt lgkmcnt(0)
	v_lshrrev_b32_e32 v28, 16, v8
	v_or_b32_e32 v30, 0x1000, v6
	v_and_or_b32 v4, 0x8000, v5, v4
	s_or_b32 s0, s1, s0
	v_add_co_ci_u32_e64 v27, s0, 0, v27, s0
	v_cmp_ne_u32_e64 s0, 0, v0
	v_lshrrev_b32_e32 v33, v20, v30
	v_mul_f16_sdwa v31, v82, v28 dst_sel:DWORD dst_unused:UNUSED_PAD src0_sel:WORD_1 src1_sel:DWORD
	v_and_b32_e32 v4, 0xffff, v4
	v_cndmask_b32_e64 v0, 0, 1, s0
	v_cmp_gt_i32_e64 s0, 31, v26
	v_lshlrev_b32_e32 v20, v20, v33
	v_fmac_f16_e32 v31, v82, v8
	v_and_or_b32 v10, 0x1ff, v11, v10
	v_lshl_or_b32 v0, v0, 9, 0x7c00
	v_cndmask_b32_e64 v27, 0x7c00, v27, s0
	v_cmp_eq_u32_e64 s0, 0x40f, v26
	v_cvt_f32_f16_e32 v31, v31
	v_mul_f16_sdwa v8, v82, v8 dst_sel:DWORD dst_unused:UNUSED_PAD src0_sel:WORD_1 src1_sel:DWORD
	v_cndmask_b32_e64 v26, v27, v0, s0
	v_cmp_ne_u32_e64 s0, v20, v30
	v_lshrrev_b32_e32 v27, 16, v1
	v_add_nc_u32_e32 v30, 0xfffffc10, v32
	v_cvt_f64_f32_e32 v[0:1], v31
	v_bfe_u32 v31, v11, 20, 11
	v_cndmask_b32_e64 v20, 0, 1, s0
	v_cmp_ne_u32_e64 s0, 0, v10
	v_and_or_b32 v5, 0x8000, v27, v26
	v_lshl_or_b32 v26, v30, 12, v6
	v_lshrrev_b32_e32 v27, 8, v11
	v_or_b32_e32 v20, v33, v20
	v_cndmask_b32_e64 v10, 0, 1, s0
	v_cmp_gt_i32_e64 s0, 1, v30
	v_lshl_or_b32 v4, v5, 16, v4
	v_fma_f16 v8, v82, v28, -v8
	v_lshrrev_b32_e32 v11, 16, v11
	v_and_or_b32 v10, 0xffe, v27, v10
	v_cndmask_b32_e64 v20, v26, v20, s0
	v_sub_nc_u32_e32 v26, 0x3f1, v31
	v_add_co_u32 v2, s0, v2, s6
	v_or_b32_e32 v27, 0x1000, v10
	v_and_b32_e32 v5, 7, v20
	v_med3_i32 v26, v26, 0, 13
	v_add_co_ci_u32_e64 v3, s0, s7, v3, s0
	v_mul_f64 v[0:1], v[0:1], s[4:5]
	v_cmp_lt_i32_e64 s0, 5, v5
	v_lshrrev_b32_e32 v29, v26, v27
	v_cmp_eq_u32_e64 s1, 3, v5
	global_store_dword v[2:3], v4, off
	v_lshrrev_b32_e32 v4, 2, v20
	v_lshlrev_b32_e32 v5, v26, v29
	s_or_b32 s0, s1, s0
	v_add_nc_u32_e32 v26, 0xfffffc10, v31
	v_add_co_ci_u32_e64 v20, s0, 0, v4, s0
	v_cmp_ne_u32_e64 s0, v5, v27
	v_cvt_f32_f16_e32 v5, v8
	v_lshl_or_b32 v27, v26, 12, v10
	v_cndmask_b32_e64 v4, 0, 1, s0
	v_cmp_ne_u32_e64 s0, 0, v6
	v_or_b32_e32 v8, v29, v4
	v_cndmask_b32_e64 v6, 0, 1, s0
	v_cmp_gt_i32_e64 s0, 31, v30
	v_and_or_b32 v0, 0x1ff, v1, v0
	v_cvt_f64_f32_e32 v[4:5], v5
	v_bfe_u32 v28, v1, 20, 11
	v_lshl_or_b32 v6, v6, 9, 0x7c00
	v_cndmask_b32_e64 v20, 0x7c00, v20, s0
	v_cmp_gt_i32_e64 s0, 1, v26
	v_sub_nc_u32_e32 v29, 0x3f1, v28
	v_add_nc_u32_e32 v28, 0xfffffc10, v28
	v_cndmask_b32_e64 v8, v27, v8, s0
	v_cmp_ne_u32_e64 s0, 0, v0
	v_lshrrev_b32_e32 v27, 8, v1
	v_med3_i32 v29, v29, 0, 13
	v_lshrrev_b32_e32 v1, 16, v1
	v_cndmask_b32_e64 v0, 0, 1, s0
	v_cmp_eq_u32_e64 s0, 0x40f, v30
	v_lshrrev_b32_e32 v30, 16, v7
	v_and_or_b32 v0, 0xffe, v27, v0
	v_cndmask_b32_e64 v20, v20, v6, s0
	v_and_b32_e32 v6, 7, v8
	v_lshrrev_b32_e32 v27, 16, v9
	v_mul_f64 v[4:5], v[4:5], s[4:5]
	v_or_b32_e32 v31, 0x1000, v0
	v_and_or_b32 v20, 0x8000, v30, v20
	v_cmp_lt_i32_e64 s0, 5, v6
	v_cmp_eq_u32_e64 s1, 3, v6
	v_lshrrev_b32_e32 v6, 2, v8
	v_mul_f16_sdwa v7, v81, v27 dst_sel:DWORD dst_unused:UNUSED_PAD src0_sel:WORD_1 src1_sel:DWORD
	v_lshrrev_b32_e32 v8, v29, v31
	s_or_b32 s0, s1, s0
	v_add_co_ci_u32_e64 v6, s0, 0, v6, s0
	v_cmp_ne_u32_e64 s0, 0, v10
	v_fmac_f16_e32 v7, v81, v9
	v_lshlrev_b32_e32 v29, v29, v8
	v_mul_f16_sdwa v9, v81, v9 dst_sel:DWORD dst_unused:UNUSED_PAD src0_sel:WORD_1 src1_sel:DWORD
	v_cndmask_b32_e64 v10, 0, 1, s0
	v_cmp_gt_i32_e64 s0, 31, v26
	v_cvt_f32_f16_e32 v7, v7
	v_fma_f16 v9, v81, v27, -v9
	v_and_or_b32 v4, 0x1ff, v5, v4
	v_lshl_or_b32 v10, v10, 9, 0x7c00
	v_cndmask_b32_e64 v32, 0x7c00, v6, s0
	v_cmp_ne_u32_e64 s0, v29, v31
	v_cvt_f64_f32_e32 v[6:7], v7
	v_cvt_f32_f16_e32 v9, v9
	v_cndmask_b32_e64 v29, 0, 1, s0
	v_cmp_eq_u32_e64 s0, 0x40f, v26
	v_lshl_or_b32 v26, v28, 12, v0
	v_or_b32_e32 v8, v8, v29
	v_cndmask_b32_e64 v10, v32, v10, s0
	v_cmp_gt_i32_e64 s0, 1, v28
	v_and_or_b32 v10, 0x8000, v11, v10
	v_cndmask_b32_e64 v8, v26, v8, s0
	v_cmp_ne_u32_e64 s0, 0, v4
	v_and_b32_e32 v11, 0xffff, v20
	v_lshrrev_b32_e32 v20, 8, v5
	v_bfe_u32 v26, v5, 20, 11
	v_and_b32_e32 v29, 7, v8
	v_cndmask_b32_e64 v4, 0, 1, s0
	v_mul_f64 v[6:7], v[6:7], s[4:5]
	v_lshl_or_b32 v30, v10, 16, v11
	v_sub_nc_u32_e32 v10, 0x3f1, v26
	v_cmp_lt_i32_e64 s0, 5, v29
	v_and_or_b32 v4, 0xffe, v20, v4
	v_cmp_eq_u32_e64 s1, 3, v29
	v_lshrrev_b32_e32 v8, 2, v8
	v_med3_i32 v10, v10, 0, 13
	v_add_nc_u32_e32 v26, 0xfffffc10, v26
	v_or_b32_e32 v11, 0x1000, v4
	s_or_b32 s0, s1, s0
	v_lshrrev_b32_e32 v5, 16, v5
	v_add_co_ci_u32_e64 v8, s0, 0, v8, s0
	v_lshrrev_b32_e32 v20, v10, v11
	v_add_co_u32 v2, s0, v2, s6
	v_add_co_ci_u32_e64 v3, s0, s7, v3, s0
	v_lshlrev_b32_e32 v10, v10, v20
	v_cmp_gt_i32_e64 s0, 31, v28
	v_and_or_b32 v6, 0x1ff, v7, v6
	v_lshrrev_b32_e32 v31, 8, v7
	v_bfe_u32 v32, v7, 20, 11
	v_cndmask_b32_e64 v27, 0x7c00, v8, s0
	v_cmp_ne_u32_e64 s0, v10, v11
	v_cvt_f64_f32_e32 v[8:9], v9
	v_add_nc_u32_e32 v10, 0xc00, v73
	global_store_dword v[2:3], v30, off
	v_lshrrev_b32_e32 v7, 16, v7
	v_cndmask_b32_e64 v29, 0, 1, s0
	v_cmp_ne_u32_e64 s0, 0, v6
	ds_read2_b32 v[10:11], v10 offset0:42 offset1:177
	v_or_b32_e32 v20, v20, v29
	v_cndmask_b32_e64 v6, 0, 1, s0
	v_cmp_ne_u32_e64 s0, 0, v0
	v_lshl_or_b32 v29, v26, 12, v4
	v_and_or_b32 v6, 0xffe, v31, v6
	v_cndmask_b32_e64 v0, 0, 1, s0
	v_sub_nc_u32_e32 v31, 0x3f1, v32
	v_cmp_gt_i32_e64 s0, 1, v26
	v_lshl_or_b32 v0, v0, 9, 0x7c00
	v_med3_i32 v31, v31, 0, 13
	v_cndmask_b32_e64 v20, v29, v20, s0
	v_or_b32_e32 v29, 0x1000, v6
	v_cmp_eq_u32_e64 s0, 0x40f, v28
	v_mul_f64 v[8:9], v[8:9], s[4:5]
	s_waitcnt lgkmcnt(0)
	v_lshrrev_b32_e32 v30, 16, v10
	v_and_b32_e32 v28, 7, v20
	v_lshrrev_b32_e32 v20, 2, v20
	v_cndmask_b32_e64 v0, v27, v0, s0
	v_lshrrev_b32_e32 v27, v31, v29
	v_cmp_lt_i32_e64 s0, 5, v28
	v_cmp_eq_u32_e64 s1, 3, v28
	v_and_or_b32 v33, 0x8000, v1, v0
	v_lshlrev_b32_e32 v0, v31, v27
	v_add_nc_u32_e32 v28, 0xfffffc10, v32
	v_mul_f16_sdwa v1, v80, v30 dst_sel:DWORD dst_unused:UNUSED_PAD src0_sel:WORD_1 src1_sel:DWORD
	s_or_b32 s0, s1, s0
	v_cmp_ne_u32_e64 s2, v0, v29
	v_add_co_ci_u32_e64 v20, s0, 0, v20, s0
	v_cmp_ne_u32_e64 s0, 0, v4
	v_lshl_or_b32 v29, v28, 12, v6
	v_cndmask_b32_e64 v0, 0, 1, s2
	v_fmac_f16_e32 v1, v80, v10
	v_and_or_b32 v8, 0x1ff, v9, v8
	v_cndmask_b32_e64 v4, 0, 1, s0
	v_cmp_gt_i32_e64 s0, 1, v28
	v_or_b32_e32 v27, v27, v0
	v_cvt_f32_f16_e32 v0, v1
	v_bfe_u32 v31, v9, 20, 11
	v_lshl_or_b32 v4, v4, 9, 0x7c00
	v_mul_f16_sdwa v10, v80, v10 dst_sel:DWORD dst_unused:UNUSED_PAD src0_sel:WORD_1 src1_sel:DWORD
	v_cndmask_b32_e64 v27, v29, v27, s0
	v_cmp_ne_u32_e64 s0, 0, v8
	v_lshrrev_b32_e32 v29, 8, v9
	v_cvt_f64_f32_e32 v[0:1], v0
	v_lshrrev_b32_e32 v9, 16, v9
	v_and_b32_e32 v32, 7, v27
	v_cndmask_b32_e64 v8, 0, 1, s0
	v_cmp_gt_i32_e64 s0, 31, v26
	v_cmp_eq_u32_e64 s1, 3, v32
	v_and_or_b32 v8, 0xffe, v29, v8
	v_cndmask_b32_e64 v20, 0x7c00, v20, s0
	v_sub_nc_u32_e32 v29, 0x3f1, v31
	v_cmp_eq_u32_e64 s0, 0x40f, v26
	v_med3_i32 v26, v29, 0, 13
	v_cndmask_b32_e64 v4, v20, v4, s0
	v_or_b32_e32 v20, 0x1000, v8
	v_cmp_lt_i32_e64 s0, 5, v32
	v_and_or_b32 v32, 0x8000, v5, v4
	v_lshrrev_b32_e32 v29, v26, v20
	v_lshrrev_b32_e32 v4, 2, v27
	v_fma_f16 v5, v80, v30, -v10
	s_or_b32 s0, s1, s0
	v_mul_f64 v[0:1], v[0:1], s[4:5]
	v_lshlrev_b32_e32 v10, v26, v29
	v_add_co_ci_u32_e64 v26, s0, 0, v4, s0
	v_cvt_f32_f16_e32 v4, v5
	v_lshrrev_b32_e32 v30, 16, v11
	v_cmp_ne_u32_e64 s0, v10, v20
	v_add_nc_u32_e32 v20, 0xfffffc10, v31
	v_cvt_f64_f32_e32 v[4:5], v4
	v_cndmask_b32_e64 v10, 0, 1, s0
	v_cmp_ne_u32_e64 s0, 0, v6
	v_lshl_or_b32 v27, v20, 12, v8
	v_or_b32_e32 v10, v29, v10
	v_cndmask_b32_e64 v6, 0, 1, s0
	v_cmp_gt_i32_e64 s0, 31, v28
	v_lshl_or_b32 v6, v6, 9, 0x7c00
	v_cndmask_b32_e64 v26, 0x7c00, v26, s0
	v_cmp_gt_i32_e64 s0, 1, v20
	v_and_or_b32 v0, 0x1ff, v1, v0
	v_bfe_u32 v29, v1, 20, 11
	v_cndmask_b32_e64 v10, v27, v10, s0
	v_cmp_eq_u32_e64 s0, 0x40f, v28
	v_lshrrev_b32_e32 v28, 8, v1
	v_mul_f64 v[4:5], v[4:5], s[4:5]
	v_and_b32_e32 v27, 0xffff, v33
	v_cndmask_b32_e64 v6, v26, v6, s0
	v_and_b32_e32 v26, 7, v10
	v_cmp_ne_u32_e64 s0, 0, v0
	v_lshrrev_b32_e32 v10, 2, v10
	v_cmp_eq_u32_e64 s1, 3, v26
	v_cndmask_b32_e64 v0, 0, 1, s0
	v_cmp_lt_i32_e64 s0, 5, v26
	v_sub_nc_u32_e32 v26, 0x3f1, v29
	v_and_or_b32 v0, 0xffe, v28, v0
	s_or_b32 s0, s1, s0
	v_med3_i32 v26, v26, 0, 13
	v_add_co_ci_u32_e64 v10, s0, 0, v10, s0
	v_cmp_ne_u32_e64 s0, 0, v8
	v_or_b32_e32 v28, 0x1000, v0
	v_and_or_b32 v4, 0x1ff, v5, v4
	v_cndmask_b32_e64 v8, 0, 1, s0
	v_cmp_gt_i32_e64 s0, 31, v20
	v_lshrrev_b32_e32 v31, v26, v28
	v_lshl_or_b32 v8, v8, 9, 0x7c00
	v_cndmask_b32_e64 v10, 0x7c00, v10, s0
	v_cmp_eq_u32_e64 s0, 0x40f, v20
	v_lshlrev_b32_e32 v26, v26, v31
	v_lshl_or_b32 v20, v32, 16, v27
	v_and_or_b32 v27, 0x8000, v7, v6
	v_cndmask_b32_e64 v8, v10, v8, s0
	v_mul_f16_sdwa v10, v79, v30 dst_sel:DWORD dst_unused:UNUSED_PAD src0_sel:WORD_1 src1_sel:DWORD
	v_cmp_ne_u32_e64 s0, v26, v28
	v_bfe_u32 v26, v5, 20, 11
	v_add_nc_u32_e32 v28, 0xfffffc10, v29
	v_and_or_b32 v8, 0x8000, v9, v8
	v_fmac_f16_e32 v10, v79, v11
	v_cndmask_b32_e64 v9, 0, 1, s0
	v_cmp_ne_u32_e64 s0, 0, v4
	v_lshl_or_b32 v29, v28, 12, v0
	v_and_b32_e32 v27, 0xffff, v27
	v_cvt_f32_f16_e32 v6, v10
	v_lshrrev_b32_e32 v10, 8, v5
	v_cndmask_b32_e64 v4, 0, 1, s0
	v_or_b32_e32 v9, v31, v9
	v_cmp_gt_i32_e64 s0, 1, v28
	v_cvt_f64_f32_e32 v[6:7], v6
	v_lshl_or_b32 v32, v8, 16, v27
	v_and_or_b32 v4, 0xffe, v10, v4
	v_sub_nc_u32_e32 v10, 0x3f1, v26
	v_cndmask_b32_e64 v29, v29, v9, s0
	v_add_co_u32 v2, s0, v2, s6
	v_or_b32_e32 v31, 0x1000, v4
	v_med3_i32 v10, v10, 0, 13
	v_add_co_ci_u32_e64 v3, s0, s7, v3, s0
	v_and_b32_e32 v27, 7, v29
	v_add_co_u32 v8, s0, v2, s6
	v_lshrrev_b32_e32 v33, v10, v31
	v_mul_f16_sdwa v11, v79, v11 dst_sel:DWORD dst_unused:UNUSED_PAD src0_sel:WORD_1 src1_sel:DWORD
	v_add_co_ci_u32_e64 v9, s0, s7, v3, s0
	v_cmp_lt_i32_e64 s0, 5, v27
	v_lshlrev_b32_e32 v10, v10, v33
	v_cmp_eq_u32_e64 s1, 3, v27
	v_fma_f16 v11, v79, v30, -v11
	v_mul_f64 v[6:7], v[6:7], s[4:5]
	v_lshrrev_b32_e32 v27, 2, v29
	v_cmp_ne_u32_e64 s2, v10, v31
	s_or_b32 s0, s1, s0
	v_cvt_f32_f16_e32 v11, v11
	v_add_nc_u32_e32 v29, 0xfffffc10, v26
	v_add_co_ci_u32_e64 v30, s0, 0, v27, s0
	v_cndmask_b32_e64 v10, 0, 1, s2
	v_cmp_ne_u32_e64 s0, 0, v0
	v_add_nc_u32_e32 v26, 0x1000, v73
	v_or_b32_e32 v31, v33, v10
	v_cvt_f64_f32_e32 v[10:11], v11
	v_lshl_or_b32 v33, v29, 12, v4
	v_cndmask_b32_e64 v0, 0, 1, s0
	v_cmp_gt_i32_e64 s0, 1, v29
	ds_read2_b32 v[26:27], v26 offset0:56 offset1:191
	global_store_dword v[2:3], v20, off
	global_store_dword v[8:9], v32, off
	v_lshl_or_b32 v0, v0, 9, 0x7c00
	v_cndmask_b32_e64 v31, v33, v31, s0
	v_and_or_b32 v6, 0x1ff, v7, v6
	v_cmp_gt_i32_e64 s0, 31, v28
	v_lshrrev_b32_e32 v34, 8, v7
	v_bfe_u32 v35, v7, 20, 11
	v_and_b32_e32 v33, 7, v31
	v_lshrrev_b32_e32 v7, 16, v7
	v_cndmask_b32_e64 v30, 0x7c00, v30, s0
	v_cmp_ne_u32_e64 s0, 0, v6
	v_cmp_eq_u32_e64 s1, 3, v33
	v_cndmask_b32_e64 v6, 0, 1, s0
	v_cmp_eq_u32_e64 s0, 0x40f, v28
	v_and_or_b32 v6, 0xffe, v34, v6
	v_cndmask_b32_e64 v28, v30, v0, s0
	v_cmp_lt_i32_e64 s0, 5, v33
	v_lshrrev_b32_e32 v30, 16, v1
	v_mul_f64 v[0:1], v[10:11], s[4:5]
	v_lshrrev_b32_e32 v11, 2, v31
	v_sub_nc_u32_e32 v34, 0x3f1, v35
	s_or_b32 s0, s1, s0
	v_or_b32_e32 v31, 0x1000, v6
	s_waitcnt lgkmcnt(0)
	v_lshrrev_b32_e32 v10, 16, v26
	v_add_co_ci_u32_e64 v11, s0, 0, v11, s0
	v_med3_i32 v33, v34, 0, 13
	v_cmp_ne_u32_e64 s0, 0, v4
	v_mul_f16_sdwa v34, v78, v10 dst_sel:DWORD dst_unused:UNUSED_PAD src0_sel:WORD_1 src1_sel:DWORD
	v_and_or_b32 v28, 0x8000, v30, v28
	v_lshrrev_b32_e32 v36, v33, v31
	v_cndmask_b32_e64 v4, 0, 1, s0
	v_cmp_gt_i32_e64 s0, 31, v29
	v_fmac_f16_e32 v34, v78, v26
	v_and_b32_e32 v28, 0xffff, v28
	v_lshlrev_b32_e32 v30, v33, v36
	v_lshl_or_b32 v4, v4, 9, 0x7c00
	v_cndmask_b32_e64 v11, 0x7c00, v11, s0
	v_cmp_eq_u32_e64 s0, 0x40f, v29
	v_and_or_b32 v0, 0x1ff, v1, v0
	v_cvt_f32_f16_e32 v33, v34
	v_lshrrev_b32_e32 v29, 16, v5
	v_bfe_u32 v34, v1, 20, 11
	v_cndmask_b32_e64 v11, v11, v4, s0
	v_cmp_ne_u32_e64 s0, v30, v31
	v_cvt_f64_f32_e32 v[4:5], v33
	v_add_nc_u32_e32 v31, 0xfffffc10, v35
	v_lshrrev_b32_e32 v33, 8, v1
	v_and_or_b32 v11, 0x8000, v29, v11
	v_cndmask_b32_e64 v30, 0, 1, s0
	v_cmp_ne_u32_e64 s0, 0, v0
	v_lshl_or_b32 v11, v11, 16, v28
	v_or_b32_e32 v29, v36, v30
	v_cndmask_b32_e64 v0, 0, 1, s0
	v_lshl_or_b32 v30, v31, 12, v6
	v_cmp_gt_i32_e64 s0, 1, v31
	v_and_or_b32 v0, 0xffe, v33, v0
	v_sub_nc_u32_e32 v33, 0x3f1, v34
	v_cndmask_b32_e64 v29, v30, v29, s0
	v_or_b32_e32 v30, 0x1000, v0
	v_med3_i32 v33, v33, 0, 13
	v_and_b32_e32 v20, 7, v29
	v_mul_f64 v[2:3], v[4:5], s[4:5]
	v_add_co_u32 v4, s0, v8, s6
	v_lshrrev_b32_e32 v28, v33, v30
	v_add_co_ci_u32_e64 v5, s0, s7, v9, s0
	v_cmp_lt_i32_e64 s0, 5, v20
	v_cmp_eq_u32_e64 s1, 3, v20
	v_lshlrev_b32_e32 v8, v33, v28
	v_mul_f16_sdwa v9, v78, v26 dst_sel:DWORD dst_unused:UNUSED_PAD src0_sel:WORD_1 src1_sel:DWORD
	v_lshrrev_b32_e32 v20, 2, v29
	global_store_dword v[4:5], v11, off
	s_or_b32 s0, s1, s0
	v_cmp_ne_u32_e64 s2, v8, v30
	v_fma_f16 v9, v78, v10, -v9
	v_add_co_ci_u32_e64 v20, s0, 0, v20, s0
	v_add_nc_u32_e32 v10, 0xfffffc10, v34
	v_cndmask_b32_e64 v8, 0, 1, s2
	v_cmp_ne_u32_e64 s0, 0, v6
	v_cvt_f32_f16_e32 v9, v9
	v_and_or_b32 v2, 0x1ff, v3, v2
	v_or_b32_e32 v26, v28, v8
	v_lshl_or_b32 v28, v10, 12, v0
	v_cndmask_b32_e64 v6, 0, 1, s0
	v_cmp_gt_i32_e64 s0, 1, v10
	v_cvt_f64_f32_e32 v[8:9], v9
	v_lshrrev_b32_e32 v29, 8, v3
	v_bfe_u32 v30, v3, 20, 11
	v_lshl_or_b32 v6, v6, 9, 0x7c00
	v_cndmask_b32_e64 v26, v28, v26, s0
	v_cmp_gt_i32_e64 s0, 31, v31
	v_and_b32_e32 v28, 7, v26
	v_cndmask_b32_e64 v20, 0x7c00, v20, s0
	v_cmp_ne_u32_e64 s0, 0, v2
	v_lshrrev_b32_e32 v26, 2, v26
	v_cmp_eq_u32_e64 s1, 3, v28
	v_cndmask_b32_e64 v2, 0, 1, s0
	v_cmp_eq_u32_e64 s0, 0x40f, v31
	v_and_or_b32 v2, 0xffe, v29, v2
	v_cndmask_b32_e64 v6, v20, v6, s0
	v_cmp_lt_i32_e64 s0, 5, v28
	v_lshrrev_b32_e32 v28, 16, v27
	v_mul_f64 v[8:9], v[8:9], s[4:5]
	v_sub_nc_u32_e32 v20, 0x3f1, v30
	v_or_b32_e32 v29, 0x1000, v2
	s_or_b32 s0, s1, s0
	v_mul_f16_sdwa v31, v77, v28 dst_sel:DWORD dst_unused:UNUSED_PAD src0_sel:WORD_1 src1_sel:DWORD
	v_add_co_ci_u32_e64 v26, s0, 0, v26, s0
	v_cmp_ne_u32_e64 s0, 0, v0
	v_med3_i32 v20, v20, 0, 13
	v_fmac_f16_e32 v31, v77, v27
	v_and_or_b32 v6, 0x8000, v7, v6
	v_mul_f16_sdwa v27, v77, v27 dst_sel:DWORD dst_unused:UNUSED_PAD src0_sel:WORD_1 src1_sel:DWORD
	v_cndmask_b32_e64 v0, 0, 1, s0
	v_cmp_gt_i32_e64 s0, 31, v10
	v_lshrrev_b32_e32 v32, v20, v29
	v_cvt_f32_f16_e32 v31, v31
	v_and_b32_e32 v6, 0xffff, v6
	v_lshl_or_b32 v0, v0, 9, 0x7c00
	v_cndmask_b32_e64 v26, 0x7c00, v26, s0
	v_cmp_eq_u32_e64 s0, 0x40f, v10
	v_lshlrev_b32_e32 v20, v20, v32
	v_and_or_b32 v8, 0x1ff, v9, v8
	v_cndmask_b32_e64 v10, v26, v0, s0
	v_lshrrev_b32_e32 v26, 16, v1
	v_cvt_f64_f32_e32 v[0:1], v31
	v_cmp_ne_u32_e64 s0, v20, v29
	v_add_nc_u32_e32 v29, 0xfffffc10, v30
	v_bfe_u32 v30, v9, 20, 11
	v_and_or_b32 v7, 0x8000, v26, v10
	v_lshrrev_b32_e32 v26, 8, v9
	v_cndmask_b32_e64 v20, 0, 1, s0
	v_cmp_ne_u32_e64 s0, 0, v8
	v_sub_nc_u32_e32 v11, 0x3f1, v30
	v_lshl_or_b32 v6, v7, 16, v6
	v_lshrrev_b32_e32 v9, 16, v9
	v_or_b32_e32 v10, v32, v20
	v_cndmask_b32_e64 v8, 0, 1, s0
	v_lshl_or_b32 v20, v29, 12, v2
	v_cmp_gt_i32_e64 s0, 1, v29
	v_med3_i32 v11, v11, 0, 13
	v_and_or_b32 v8, 0xffe, v26, v8
	v_cndmask_b32_e64 v10, v20, v10, s0
	v_add_co_u32 v4, s0, v4, s6
	v_mul_f64 v[0:1], v[0:1], s[4:5]
	v_or_b32_e32 v20, 0x1000, v8
	v_and_b32_e32 v7, 7, v10
	v_add_co_ci_u32_e64 v5, s0, s7, v5, s0
	v_lshrrev_b32_e32 v26, v11, v20
	v_cmp_lt_i32_e64 s0, 5, v7
	v_cmp_eq_u32_e64 s1, 3, v7
	global_store_dword v[4:5], v6, off
	v_lshrrev_b32_e32 v6, 2, v10
	v_lshlrev_b32_e32 v10, v11, v26
	v_fma_f16 v11, v77, v28, -v27
	s_or_b32 s0, s1, s0
	v_add_co_ci_u32_e64 v27, s0, 0, v6, s0
	v_cmp_ne_u32_e64 s0, v10, v20
	ds_read2_b32 v[6:7], v25 offset0:70 offset1:205
	v_cvt_f32_f16_e32 v10, v11
	v_add_nc_u32_e32 v25, 0xfffffc10, v30
	v_cndmask_b32_e64 v20, 0, 1, s0
	v_and_or_b32 v0, 0x1ff, v1, v0
	v_cmp_gt_i32_e64 s0, 31, v29
	v_cvt_f64_f32_e32 v[10:11], v10
	v_lshrrev_b32_e32 v28, 8, v1
	v_or_b32_e32 v20, v26, v20
	v_lshl_or_b32 v26, v25, 12, v8
	v_cndmask_b32_e64 v27, 0x7c00, v27, s0
	v_cmp_ne_u32_e64 s0, 0, v0
	v_bfe_u32 v30, v1, 20, 11
	v_cndmask_b32_e64 v0, 0, 1, s0
	v_cmp_ne_u32_e64 s0, 0, v2
	v_and_or_b32 v0, 0xffe, v28, v0
	v_cndmask_b32_e64 v2, 0, 1, s0
	v_cmp_gt_i32_e64 s0, 1, v25
	s_waitcnt lgkmcnt(0)
	v_lshrrev_b32_e32 v28, 16, v6
	v_or_b32_e32 v32, 0x1000, v0
	v_lshl_or_b32 v2, v2, 9, 0x7c00
	v_cndmask_b32_e64 v20, v26, v20, s0
	v_sub_nc_u32_e32 v26, 0x3f1, v30
	v_cmp_eq_u32_e64 s0, 0x40f, v29
	v_mul_f16_sdwa v33, v76, v28 dst_sel:DWORD dst_unused:UNUSED_PAD src0_sel:WORD_1 src1_sel:DWORD
	v_mul_f64 v[10:11], v[10:11], s[4:5]
	v_and_b32_e32 v31, 7, v20
	v_med3_i32 v26, v26, 0, 13
	v_cndmask_b32_e64 v27, v27, v2, s0
	v_lshrrev_b32_e32 v2, 2, v20
	v_fmac_f16_e32 v33, v76, v6
	v_cmp_lt_i32_e64 s0, 5, v31
	v_cmp_eq_u32_e64 s1, 3, v31
	v_lshrrev_b32_e32 v29, v26, v32
	v_lshrrev_b32_e32 v31, 16, v3
	v_cvt_f32_f16_e32 v3, v33
	v_add_nc_u32_e32 v30, 0xfffffc10, v30
	s_or_b32 s0, s1, s0
	v_lshlrev_b32_e32 v20, v26, v29
	v_add_co_ci_u32_e64 v26, s0, 0, v2, s0
	v_cmp_ne_u32_e64 s0, 0, v8
	v_cvt_f64_f32_e32 v[2:3], v3
	v_and_or_b32 v27, 0x8000, v31, v27
	v_mul_f16_sdwa v6, v76, v6 dst_sel:DWORD dst_unused:UNUSED_PAD src0_sel:WORD_1 src1_sel:DWORD
	v_lshrrev_b32_e32 v33, 16, v7
	v_cndmask_b32_e64 v8, 0, 1, s0
	v_cmp_ne_u32_e64 s0, v20, v32
	v_and_or_b32 v10, 0x1ff, v11, v10
	v_and_b32_e32 v27, 0xffff, v27
	v_fma_f16 v6, v76, v28, -v6
	v_lshl_or_b32 v8, v8, 9, 0x7c00
	v_cndmask_b32_e64 v20, 0, 1, s0
	v_cmp_gt_i32_e64 s0, 31, v25
	v_cvt_f32_f16_e32 v6, v6
	v_or_b32_e32 v20, v29, v20
	v_cndmask_b32_e64 v26, 0x7c00, v26, s0
	v_cmp_eq_u32_e64 s0, 0x40f, v25
	v_lshl_or_b32 v29, v30, 12, v0
	v_lshrrev_b32_e32 v25, 8, v11
	v_cndmask_b32_e64 v8, v26, v8, s0
	v_cmp_gt_i32_e64 s0, 1, v30
	v_bfe_u32 v26, v11, 20, 11
	v_mul_f64 v[2:3], v[2:3], s[4:5]
	v_lshrrev_b32_e32 v11, 16, v11
	v_and_or_b32 v8, 0x8000, v9, v8
	v_cndmask_b32_e64 v20, v29, v20, s0
	v_cmp_ne_u32_e64 s0, 0, v10
	v_lshl_or_b32 v27, v8, 16, v27
	v_and_b32_e32 v29, 7, v20
	v_cndmask_b32_e64 v10, 0, 1, s0
	v_lshrrev_b32_e32 v20, 2, v20
	v_cmp_lt_i32_e64 s0, 5, v29
	v_and_or_b32 v10, 0xffe, v25, v10
	v_sub_nc_u32_e32 v25, 0x3f1, v26
	v_cmp_eq_u32_e64 s1, 3, v29
	v_or_b32_e32 v9, 0x1000, v10
	v_med3_i32 v25, v25, 0, 13
	s_or_b32 s0, s1, s0
	v_and_or_b32 v2, 0x1ff, v3, v2
	v_add_co_ci_u32_e64 v20, s0, 0, v20, s0
	v_lshrrev_b32_e32 v29, v25, v9
	v_cmp_gt_i32_e64 s0, 31, v30
	v_bfe_u32 v28, v3, 20, 11
	v_lshlrev_b32_e32 v8, v25, v29
	v_cndmask_b32_e64 v20, 0x7c00, v20, s0
	v_cmp_ne_u32_e64 s0, v8, v9
	v_cvt_f64_f32_e32 v[8:9], v6
	v_add_nc_u32_e32 v6, 0xfffffc10, v26
	v_lshrrev_b32_e32 v26, 8, v3
	v_cndmask_b32_e64 v25, 0, 1, s0
	v_cmp_ne_u32_e64 s0, 0, v2
	v_or_b32_e32 v25, v29, v25
	v_cndmask_b32_e64 v2, 0, 1, s0
	v_cmp_ne_u32_e64 s0, 0, v0
	v_lshl_or_b32 v29, v6, 12, v10
	v_and_or_b32 v2, 0xffe, v26, v2
	v_cndmask_b32_e64 v0, 0, 1, s0
	v_cmp_gt_i32_e64 s0, 1, v6
	v_sub_nc_u32_e32 v26, 0x3f1, v28
	v_lshl_or_b32 v0, v0, 9, 0x7c00
	v_cndmask_b32_e64 v25, v29, v25, s0
	v_cmp_eq_u32_e64 s0, 0x40f, v30
	v_or_b32_e32 v29, 0x1000, v2
	v_med3_i32 v26, v26, 0, 13
	v_lshrrev_b32_e32 v30, 16, v1
	v_and_b32_e32 v31, 7, v25
	v_cndmask_b32_e64 v20, v20, v0, s0
	v_mul_f64 v[0:1], v[8:9], s[4:5]
	v_lshrrev_b32_e32 v32, v26, v29
	v_add_co_u32 v4, s0, v4, s6
	v_add_co_ci_u32_e64 v5, s0, s7, v5, s0
	v_lshlrev_b32_e32 v9, v26, v32
	v_mul_f16_sdwa v8, v75, v33 dst_sel:DWORD dst_unused:UNUSED_PAD src0_sel:WORD_1 src1_sel:DWORD
	v_cmp_lt_i32_e64 s0, 5, v31
	v_cmp_eq_u32_e64 s1, 3, v31
	v_lshrrev_b32_e32 v25, 2, v25
	v_cmp_ne_u32_e64 s2, v9, v29
	v_fmac_f16_e32 v8, v75, v7
	v_add_nc_u32_e32 v26, 0xfffffc10, v28
	s_or_b32 s0, s1, s0
	v_and_or_b32 v20, 0x8000, v30, v20
	v_add_co_ci_u32_e64 v25, s0, 0, v25, s0
	v_cndmask_b32_e64 v9, 0, 1, s2
	v_cmp_ne_u32_e64 s0, 0, v10
	v_cvt_f32_f16_e32 v8, v8
	v_lshl_or_b32 v29, v26, 12, v2
	v_and_or_b32 v0, 0x1ff, v1, v0
	v_or_b32_e32 v28, v32, v9
	v_cndmask_b32_e64 v10, 0, 1, s0
	v_cmp_gt_i32_e64 s0, 1, v26
	v_cvt_f64_f32_e32 v[8:9], v8
	v_bfe_u32 v30, v1, 20, 11
	v_and_b32_e32 v20, 0xffff, v20
	v_lshl_or_b32 v10, v10, 9, 0x7c00
	v_cndmask_b32_e64 v28, v29, v28, s0
	v_cmp_ne_u32_e64 s0, 0, v0
	v_lshrrev_b32_e32 v29, 8, v1
	v_mul_f16_sdwa v7, v75, v7 dst_sel:DWORD dst_unused:UNUSED_PAD src0_sel:WORD_1 src1_sel:DWORD
	v_and_b32_e32 v31, 7, v28
	v_cndmask_b32_e64 v0, 0, 1, s0
	v_cmp_gt_i32_e64 s0, 31, v6
	v_fma_f16 v7, v75, v33, -v7
	v_cmp_eq_u32_e64 s1, 3, v31
	v_and_or_b32 v0, 0xffe, v29, v0
	v_cndmask_b32_e64 v25, 0x7c00, v25, s0
	v_cmp_eq_u32_e64 s0, 0x40f, v6
	ds_read_b32 v29, v73 offset:6480
	v_cndmask_b32_e64 v6, v25, v10, s0
	v_sub_nc_u32_e32 v10, 0x3f1, v30
	v_cmp_lt_i32_e64 s0, 5, v31
	v_mul_f64 v[8:9], v[8:9], s[4:5]
	v_or_b32_e32 v25, 0x1000, v0
	v_and_or_b32 v6, 0x8000, v11, v6
	v_lshrrev_b32_e32 v11, 2, v28
	v_med3_i32 v10, v10, 0, 13
	s_or_b32 s0, s1, s0
	v_lshl_or_b32 v20, v6, 16, v20
	v_add_co_ci_u32_e64 v11, s0, 0, v11, s0
	v_lshrrev_b32_e32 v28, v10, v25
	v_cmp_ne_u32_e64 s0, 0, v2
	v_lshlrev_b32_e32 v6, v10, v28
	v_cndmask_b32_e64 v2, 0, 1, s0
	v_cmp_gt_i32_e64 s0, 31, v26
	v_lshl_or_b32 v2, v2, 9, 0x7c00
	v_cndmask_b32_e64 v10, 0x7c00, v11, s0
	v_cmp_ne_u32_e64 s0, v6, v25
	v_and_or_b32 v8, 0x1ff, v9, v8
	v_add_nc_u32_e32 v25, 0xfffffc10, v30
	v_lshrrev_b32_e32 v30, 16, v3
	v_cndmask_b32_e64 v6, 0, 1, s0
	v_cmp_eq_u32_e64 s0, 0x40f, v26
	v_lshl_or_b32 v11, v25, 12, v0
	v_lshrrev_b32_e32 v26, 8, v9
	v_cndmask_b32_e64 v10, v10, v2, s0
	v_cmp_ne_u32_e64 s0, 0, v8
	v_or_b32_e32 v2, v28, v6
	v_cvt_f32_f16_e32 v6, v7
	v_bfe_u32 v28, v9, 20, 11
	v_and_or_b32 v30, 0x8000, v30, v10
	v_cndmask_b32_e64 v8, 0, 1, s0
	v_cmp_gt_i32_e64 s0, 1, v25
	v_cvt_f64_f32_e32 v[6:7], v6
	v_lshrrev_b32_e32 v9, 16, v9
	v_and_or_b32 v8, 0xffe, v26, v8
	v_cndmask_b32_e64 v11, v11, v2, s0
	v_sub_nc_u32_e32 v2, 0x3f1, v28
	s_waitcnt lgkmcnt(0)
	v_lshrrev_b32_e32 v26, 16, v29
	v_add_nc_u32_e32 v28, 0xfffffc10, v28
	v_or_b32_e32 v32, 0x1000, v8
	v_and_b32_e32 v31, 7, v11
	v_med3_i32 v33, v2, 0, 13
	v_mul_f16_sdwa v34, v74, v26 dst_sel:DWORD dst_unused:UNUSED_PAD src0_sel:WORD_1 src1_sel:DWORD
	v_add_co_u32 v2, s0, v4, s6
	v_add_co_ci_u32_e64 v3, s0, s7, v5, s0
	v_lshrrev_b32_e32 v35, v33, v32
	v_fmac_f16_e32 v34, v74, v29
	v_cmp_lt_i32_e64 s0, 5, v31
	v_cmp_eq_u32_e64 s1, 3, v31
	v_lshrrev_b32_e32 v10, 2, v11
	v_lshlrev_b32_e32 v31, v33, v35
	v_cvt_f32_f16_e32 v11, v34
	v_mul_f64 v[6:7], v[6:7], s[4:5]
	s_or_b32 s0, s1, s0
	v_mul_f16_sdwa v29, v74, v29 dst_sel:DWORD dst_unused:UNUSED_PAD src0_sel:WORD_1 src1_sel:DWORD
	v_add_co_ci_u32_e64 v33, s0, 0, v10, s0
	v_cmp_ne_u32_e64 s0, v31, v32
	v_cvt_f64_f32_e32 v[10:11], v11
	v_lshl_or_b32 v32, v28, 12, v8
	v_fma_f16 v26, v74, v26, -v29
	v_cndmask_b32_e64 v31, 0, 1, s0
	v_cmp_ne_u32_e64 s0, 0, v0
	v_cvt_f32_f16_e32 v26, v26
	v_or_b32_e32 v31, v35, v31
	v_cndmask_b32_e64 v0, 0, 1, s0
	v_cmp_gt_i32_e64 s0, 31, v25
	v_lshl_or_b32 v0, v0, 9, 0x7c00
	v_cndmask_b32_e64 v29, 0x7c00, v33, s0
	v_cmp_gt_i32_e64 s0, 1, v28
	v_and_or_b32 v6, 0x1ff, v7, v6
	v_bfe_u32 v33, v7, 20, 11
	v_cndmask_b32_e64 v31, v32, v31, s0
	v_cmp_eq_u32_e64 s0, 0x40f, v25
	v_mul_f64 v[10:11], v[10:11], s[4:5]
	v_lshrrev_b32_e32 v32, 8, v7
	v_lshrrev_b32_e32 v7, 16, v7
	v_cndmask_b32_e64 v25, v29, v0, s0
	v_lshrrev_b32_e32 v29, 16, v1
	v_cvt_f64_f32_e32 v[0:1], v26
	v_cmp_ne_u32_e64 s0, 0, v6
	v_and_b32_e32 v26, 7, v31
	v_and_or_b32 v25, 0x8000, v29, v25
	v_and_b32_e32 v29, 0xffff, v30
	v_cndmask_b32_e64 v6, 0, 1, s0
	v_cmp_lt_i32_e64 s0, 5, v26
	v_cmp_eq_u32_e64 s1, 3, v26
	v_lshrrev_b32_e32 v26, 2, v31
	v_sub_nc_u32_e32 v30, 0x3f1, v33
	v_and_or_b32 v6, 0xffe, v32, v6
	v_lshl_or_b32 v25, v25, 16, v29
	s_or_b32 s0, s1, s0
	v_add_co_ci_u32_e64 v26, s0, 0, v26, s0
	v_or_b32_e32 v29, 0x1000, v6
	v_med3_i32 v30, v30, 0, 13
	v_cmp_ne_u32_e64 s0, 0, v8
	v_and_or_b32 v10, 0x1ff, v11, v10
	v_lshrrev_b32_e32 v32, 8, v11
	v_mul_f64 v[0:1], v[0:1], s[4:5]
	v_lshrrev_b32_e32 v31, v30, v29
	v_cndmask_b32_e64 v8, 0, 1, s0
	v_cmp_gt_i32_e64 s0, 31, v28
	v_bfe_u32 v34, v11, 20, 11
	v_lshrrev_b32_e32 v11, 16, v11
	v_lshlrev_b32_e32 v30, v30, v31
	v_lshl_or_b32 v8, v8, 9, 0x7c00
	v_cndmask_b32_e64 v26, 0x7c00, v26, s0
	v_cmp_ne_u32_e64 s0, 0, v10
	v_cndmask_b32_e64 v10, 0, 1, s0
	v_cmp_ne_u32_e64 s0, v30, v29
	v_add_nc_u32_e32 v30, 0xfffffc10, v33
	v_and_or_b32 v10, 0xffe, v32, v10
	v_cndmask_b32_e64 v29, 0, 1, s0
	v_sub_nc_u32_e32 v32, 0x3f1, v34
	v_cmp_eq_u32_e64 s0, 0x40f, v28
	v_lshl_or_b32 v28, v30, 12, v6
	v_and_or_b32 v0, 0x1ff, v1, v0
	v_bfe_u32 v33, v1, 20, 11
	v_cndmask_b32_e64 v8, v26, v8, s0
	v_or_b32_e32 v26, v31, v29
	v_or_b32_e32 v29, 0x1000, v10
	v_med3_i32 v31, v32, 0, 13
	v_cmp_gt_i32_e64 s0, 1, v30
	v_lshrrev_b32_e32 v32, 8, v1
	v_and_or_b32 v8, 0x8000, v9, v8
	v_sub_nc_u32_e32 v9, 0x3f1, v33
	v_lshrrev_b32_e32 v1, 16, v1
	v_cndmask_b32_e64 v26, v28, v26, s0
	v_lshrrev_b32_e32 v28, v31, v29
	v_cmp_ne_u32_e64 s0, 0, v0
	v_med3_i32 v9, v9, 0, 13
	v_and_b32_e32 v8, 0xffff, v8
	v_and_b32_e32 v35, 7, v26
	v_lshlrev_b32_e32 v31, v31, v28
	v_cndmask_b32_e64 v0, 0, 1, s0
	v_lshrrev_b32_e32 v26, 2, v26
	v_cmp_lt_i32_e64 s0, 5, v35
	v_cmp_ne_u32_e64 s1, v31, v29
	v_and_or_b32 v0, 0xffe, v32, v0
	v_add_nc_u32_e32 v32, 0xfffffc10, v34
	v_cndmask_b32_e64 v29, 0, 1, s1
	v_cmp_eq_u32_e64 s1, 3, v35
	v_or_b32_e32 v31, 0x1000, v0
	v_lshl_or_b32 v34, v32, 12, v10
	v_or_b32_e32 v28, v28, v29
	s_or_b32 s0, s1, s0
	v_lshrrev_b32_e32 v29, v9, v31
	v_add_co_ci_u32_e64 v26, s0, 0, v26, s0
	v_cmp_gt_i32_e64 s0, 1, v32
	v_lshlrev_b32_e32 v9, v9, v29
	v_cndmask_b32_e64 v28, v34, v28, s0
	v_cmp_ne_u32_e64 s0, 0, v6
	v_cndmask_b32_e64 v6, 0, 1, s0
	v_cmp_ne_u32_e64 s0, v9, v31
	v_add_nc_u32_e32 v31, 0xfffffc10, v33
	v_and_b32_e32 v33, 7, v28
	v_lshl_or_b32 v6, v6, 9, 0x7c00
	v_cndmask_b32_e64 v9, 0, 1, s0
	v_cmp_gt_i32_e64 s0, 31, v30
	v_cmp_gt_i32_e64 s2, 1, v31
	v_cmp_eq_u32_e64 s1, 3, v33
	v_or_b32_e32 v9, v29, v9
	v_lshl_or_b32 v29, v31, 12, v0
	v_cndmask_b32_e64 v26, 0x7c00, v26, s0
	v_cmp_lt_i32_e64 s0, 5, v33
	v_cndmask_b32_e64 v9, v29, v9, s2
	v_cmp_eq_u32_e64 s2, 0x40f, v30
	s_or_b32 s0, s1, s0
	v_cndmask_b32_e64 v6, v26, v6, s2
	v_lshrrev_b32_e32 v26, 2, v28
	v_and_b32_e32 v28, 7, v9
	v_lshrrev_b32_e32 v9, 2, v9
	v_cmp_gt_i32_e64 s2, 31, v32
	v_add_co_ci_u32_e64 v26, s0, 0, v26, s0
	v_cmp_ne_u32_e64 s0, 0, v10
	v_cmp_eq_u32_e64 s1, 3, v28
	v_cndmask_b32_e64 v26, 0x7c00, v26, s2
	v_cndmask_b32_e64 v10, 0, 1, s0
	v_cmp_lt_i32_e64 s0, 5, v28
	v_lshl_or_b32 v10, v10, 9, 0x7c00
	s_or_b32 s0, s1, s0
	v_add_co_ci_u32_e64 v9, s0, 0, v9, s0
	v_cmp_ne_u32_e64 s0, 0, v0
	v_cndmask_b32_e64 v0, 0, 1, s0
	v_cmp_eq_u32_e64 s0, 0x40f, v32
	v_lshl_or_b32 v0, v0, 9, 0x7c00
	v_cndmask_b32_e64 v10, v26, v10, s0
	v_cmp_gt_i32_e64 s0, 31, v31
	v_and_or_b32 v26, 0x8000, v7, v6
	v_and_or_b32 v10, 0x8000, v11, v10
	v_cndmask_b32_e64 v9, 0x7c00, v9, s0
	v_cmp_eq_u32_e64 s0, 0x40f, v31
	v_lshl_or_b32 v11, v26, 16, v8
	v_cndmask_b32_e64 v0, v9, v0, s0
	v_add_co_u32 v6, s0, v2, s6
	v_add_co_ci_u32_e64 v7, s0, s7, v3, s0
	v_and_or_b32 v0, 0x8000, v1, v0
	v_and_b32_e32 v1, 0xffff, v10
	v_add_co_u32 v8, s0, v6, s6
	v_add_co_ci_u32_e64 v9, s0, s7, v7, s0
	v_lshl_or_b32 v10, v0, 16, v1
	v_add_co_u32 v0, s0, v8, s6
	v_add_co_ci_u32_e64 v1, s0, s7, v9, s0
	global_store_dword v[4:5], v27, off
	global_store_dword v[2:3], v20, off
	;; [unrolled: 1-line block ×5, first 2 shown]
	s_and_b32 exec_lo, exec_lo, vcc_lo
	s_cbranch_execz .LBB0_15
; %bb.14:
	global_load_dword v4, v[18:19], off offset:468
	ds_read2_b32 v[2:3], v73 offset0:117 offset1:252
	v_mad_u64_u32 v[0:1], null, 0xffffe884, s8, v[0:1]
	s_waitcnt lgkmcnt(0)
	v_lshrrev_b32_e32 v5, 16, v2
	s_waitcnt vmcnt(0)
	v_mul_f16_sdwa v6, v5, v4 dst_sel:DWORD dst_unused:UNUSED_PAD src0_sel:DWORD src1_sel:WORD_1
	v_mul_f16_sdwa v7, v2, v4 dst_sel:DWORD dst_unused:UNUSED_PAD src0_sel:DWORD src1_sel:WORD_1
	v_fmac_f16_e32 v6, v2, v4
	v_fma_f16 v2, v4, v5, -v7
	v_cvt_f32_f16_e32 v4, v6
	v_cvt_f32_f16_e32 v2, v2
	v_cvt_f64_f32_e32 v[4:5], v4
	v_cvt_f64_f32_e32 v[6:7], v2
	v_mul_f64 v[4:5], v[4:5], s[4:5]
	v_mul_f64 v[6:7], v[6:7], s[4:5]
	v_and_or_b32 v2, 0x1ff, v5, v4
	v_and_or_b32 v6, 0x1ff, v7, v6
	v_lshrrev_b32_e32 v4, 8, v5
	v_bfe_u32 v8, v5, 20, 11
	v_lshrrev_b32_e32 v9, 8, v7
	v_cmp_ne_u32_e32 vcc_lo, 0, v2
	v_bfe_u32 v10, v7, 20, 11
	v_lshrrev_b32_e32 v5, 16, v5
	v_sub_nc_u32_e32 v11, 0x3f1, v8
	v_add_nc_u32_e32 v8, 0xfffffc10, v8
	v_cndmask_b32_e64 v2, 0, 1, vcc_lo
	v_cmp_ne_u32_e32 vcc_lo, 0, v6
	v_lshrrev_b32_e32 v7, 16, v7
	v_and_or_b32 v2, 0xffe, v4, v2
	v_cndmask_b32_e64 v6, 0, 1, vcc_lo
	v_sub_nc_u32_e32 v4, 0x3f1, v10
	v_add_nc_u32_e32 v10, 0xfffffc10, v10
	v_and_or_b32 v6, 0xffe, v9, v6
	v_med3_i32 v9, v11, 0, 13
	v_or_b32_e32 v11, 0x1000, v2
	v_med3_i32 v4, v4, 0, 13
	v_or_b32_e32 v20, 0x1000, v6
	v_lshrrev_b32_e32 v25, v9, v11
	v_lshrrev_b32_e32 v26, v4, v20
	v_lshlrev_b32_e32 v9, v9, v25
	v_lshlrev_b32_e32 v4, v4, v26
	v_cmp_ne_u32_e32 vcc_lo, v9, v11
	v_lshl_or_b32 v11, v8, 12, v2
	v_cndmask_b32_e64 v9, 0, 1, vcc_lo
	v_cmp_ne_u32_e32 vcc_lo, v4, v20
	v_lshl_or_b32 v20, v10, 12, v6
	v_or_b32_e32 v9, v25, v9
	v_cndmask_b32_e64 v4, 0, 1, vcc_lo
	v_cmp_gt_i32_e32 vcc_lo, 1, v8
	v_or_b32_e32 v4, v26, v4
	v_cndmask_b32_e32 v9, v11, v9, vcc_lo
	v_cmp_gt_i32_e32 vcc_lo, 1, v10
	v_and_b32_e32 v11, 7, v9
	v_cndmask_b32_e32 v4, v20, v4, vcc_lo
	v_cmp_ne_u32_e32 vcc_lo, 0, v2
	v_lshrrev_b32_e32 v9, 2, v9
	v_cmp_eq_u32_e64 s0, 3, v11
	v_and_b32_e32 v20, 7, v4
	v_cndmask_b32_e64 v2, 0, 1, vcc_lo
	v_cmp_ne_u32_e32 vcc_lo, 0, v6
	v_lshrrev_b32_e32 v4, 2, v4
	v_cmp_lt_i32_e64 s1, 5, v20
	v_cmp_eq_u32_e64 s2, 3, v20
	v_cndmask_b32_e64 v6, 0, 1, vcc_lo
	v_cmp_lt_i32_e32 vcc_lo, 5, v11
	v_lshl_or_b32 v2, v2, 9, 0x7c00
	v_lshl_or_b32 v6, v6, 9, 0x7c00
	s_or_b32 vcc_lo, s0, vcc_lo
	s_mul_i32 s0, s9, 0xffffe884
	v_add_co_ci_u32_e32 v9, vcc_lo, 0, v9, vcc_lo
	s_or_b32 vcc_lo, s2, s1
	s_sub_i32 s0, s0, s8
	v_add_co_ci_u32_e32 v4, vcc_lo, 0, v4, vcc_lo
	v_cmp_gt_i32_e32 vcc_lo, 31, v8
	v_add_nc_u32_e32 v1, s0, v1
	v_cndmask_b32_e32 v9, 0x7c00, v9, vcc_lo
	v_cmp_gt_i32_e32 vcc_lo, 31, v10
	v_cndmask_b32_e32 v4, 0x7c00, v4, vcc_lo
	v_cmp_eq_u32_e32 vcc_lo, 0x40f, v8
	v_cndmask_b32_e32 v2, v9, v2, vcc_lo
	v_cmp_eq_u32_e32 vcc_lo, 0x40f, v10
	v_and_or_b32 v2, 0x8000, v5, v2
	v_cndmask_b32_e32 v4, v4, v6, vcc_lo
	v_and_b32_e32 v2, 0xffff, v2
	v_and_or_b32 v4, 0x8000, v7, v4
	v_lshl_or_b32 v2, v4, 16, v2
	v_lshrrev_b32_e32 v4, 16, v3
	global_store_dword v[0:1], v2, off
	global_load_dword v2, v[18:19], off offset:1008
	s_waitcnt vmcnt(0)
	v_mul_f16_sdwa v5, v4, v2 dst_sel:DWORD dst_unused:UNUSED_PAD src0_sel:DWORD src1_sel:WORD_1
	v_mul_f16_sdwa v6, v3, v2 dst_sel:DWORD dst_unused:UNUSED_PAD src0_sel:DWORD src1_sel:WORD_1
	v_fmac_f16_e32 v5, v3, v2
	v_fma_f16 v2, v2, v4, -v6
	v_cvt_f32_f16_e32 v3, v5
	v_cvt_f32_f16_e32 v4, v2
	v_cvt_f64_f32_e32 v[2:3], v3
	v_cvt_f64_f32_e32 v[4:5], v4
	v_mul_f64 v[2:3], v[2:3], s[4:5]
	v_mul_f64 v[4:5], v[4:5], s[4:5]
	v_and_or_b32 v2, 0x1ff, v3, v2
	v_and_or_b32 v4, 0x1ff, v5, v4
	v_lshrrev_b32_e32 v6, 8, v3
	v_bfe_u32 v7, v3, 20, 11
	v_lshrrev_b32_e32 v8, 8, v5
	v_cmp_ne_u32_e32 vcc_lo, 0, v2
	v_bfe_u32 v9, v5, 20, 11
	v_lshrrev_b32_e32 v3, 16, v3
	v_sub_nc_u32_e32 v10, 0x3f1, v7
	v_add_nc_u32_e32 v7, 0xfffffc10, v7
	v_cndmask_b32_e64 v2, 0, 1, vcc_lo
	v_cmp_ne_u32_e32 vcc_lo, 0, v4
	v_lshrrev_b32_e32 v5, 16, v5
	v_and_or_b32 v2, 0xffe, v6, v2
	v_cndmask_b32_e64 v4, 0, 1, vcc_lo
	v_sub_nc_u32_e32 v6, 0x3f1, v9
	v_add_nc_u32_e32 v9, 0xfffffc10, v9
	v_and_or_b32 v4, 0xffe, v8, v4
	v_med3_i32 v8, v10, 0, 13
	v_or_b32_e32 v10, 0x1000, v2
	v_med3_i32 v6, v6, 0, 13
	v_or_b32_e32 v11, 0x1000, v4
	v_lshrrev_b32_e32 v20, v8, v10
	v_lshrrev_b32_e32 v25, v6, v11
	v_lshlrev_b32_e32 v8, v8, v20
	v_lshlrev_b32_e32 v6, v6, v25
	v_cmp_ne_u32_e32 vcc_lo, v8, v10
	v_lshl_or_b32 v10, v7, 12, v2
	v_cndmask_b32_e64 v8, 0, 1, vcc_lo
	v_cmp_ne_u32_e32 vcc_lo, v6, v11
	v_lshl_or_b32 v11, v9, 12, v4
	v_or_b32_e32 v8, v20, v8
	v_cndmask_b32_e64 v6, 0, 1, vcc_lo
	v_cmp_gt_i32_e32 vcc_lo, 1, v7
	v_or_b32_e32 v6, v25, v6
	v_cndmask_b32_e32 v8, v10, v8, vcc_lo
	v_cmp_gt_i32_e32 vcc_lo, 1, v9
	v_and_b32_e32 v10, 7, v8
	v_cndmask_b32_e32 v6, v11, v6, vcc_lo
	v_cmp_ne_u32_e32 vcc_lo, 0, v2
	v_lshrrev_b32_e32 v8, 2, v8
	v_cmp_eq_u32_e64 s0, 3, v10
	v_and_b32_e32 v11, 7, v6
	v_cndmask_b32_e64 v2, 0, 1, vcc_lo
	v_cmp_ne_u32_e32 vcc_lo, 0, v4
	v_lshrrev_b32_e32 v6, 2, v6
	v_cmp_lt_i32_e64 s1, 5, v11
	v_cmp_eq_u32_e64 s2, 3, v11
	v_cndmask_b32_e64 v4, 0, 1, vcc_lo
	v_cmp_lt_i32_e32 vcc_lo, 5, v10
	v_lshl_or_b32 v2, v2, 9, 0x7c00
	v_lshl_or_b32 v4, v4, 9, 0x7c00
	s_or_b32 vcc_lo, s0, vcc_lo
	v_add_co_ci_u32_e32 v8, vcc_lo, 0, v8, vcc_lo
	s_or_b32 vcc_lo, s2, s1
	v_add_co_ci_u32_e32 v6, vcc_lo, 0, v6, vcc_lo
	v_cmp_gt_i32_e32 vcc_lo, 31, v7
	v_cndmask_b32_e32 v8, 0x7c00, v8, vcc_lo
	v_cmp_gt_i32_e32 vcc_lo, 31, v9
	v_cndmask_b32_e32 v6, 0x7c00, v6, vcc_lo
	v_cmp_eq_u32_e32 vcc_lo, 0x40f, v7
	v_cndmask_b32_e32 v2, v8, v2, vcc_lo
	v_cmp_eq_u32_e32 vcc_lo, 0x40f, v9
	v_and_or_b32 v2, 0x8000, v3, v2
	v_cndmask_b32_e32 v4, v6, v4, vcc_lo
	v_add_co_u32 v0, vcc_lo, v0, s6
	v_add_co_ci_u32_e32 v1, vcc_lo, s7, v1, vcc_lo
	v_and_or_b32 v3, 0x8000, v5, v4
	v_and_b32_e32 v2, 0xffff, v2
	v_lshl_or_b32 v2, v3, 16, v2
	global_store_dword v[0:1], v2, off
	global_load_dword v4, v[18:19], off offset:1548
	ds_read2_b32 v[2:3], v24 offset0:3 offset1:138
	s_waitcnt lgkmcnt(0)
	v_lshrrev_b32_e32 v5, 16, v2
	s_waitcnt vmcnt(0)
	v_mul_f16_sdwa v6, v5, v4 dst_sel:DWORD dst_unused:UNUSED_PAD src0_sel:DWORD src1_sel:WORD_1
	v_mul_f16_sdwa v7, v2, v4 dst_sel:DWORD dst_unused:UNUSED_PAD src0_sel:DWORD src1_sel:WORD_1
	v_fmac_f16_e32 v6, v2, v4
	v_fma_f16 v2, v4, v5, -v7
	v_cvt_f32_f16_e32 v4, v6
	v_cvt_f32_f16_e32 v2, v2
	v_cvt_f64_f32_e32 v[4:5], v4
	v_cvt_f64_f32_e32 v[6:7], v2
	v_mul_f64 v[4:5], v[4:5], s[4:5]
	v_mul_f64 v[6:7], v[6:7], s[4:5]
	v_and_or_b32 v2, 0x1ff, v5, v4
	v_and_or_b32 v6, 0x1ff, v7, v6
	v_lshrrev_b32_e32 v4, 8, v5
	v_bfe_u32 v8, v5, 20, 11
	v_lshrrev_b32_e32 v9, 8, v7
	v_cmp_ne_u32_e32 vcc_lo, 0, v2
	v_bfe_u32 v10, v7, 20, 11
	v_lshrrev_b32_e32 v5, 16, v5
	v_sub_nc_u32_e32 v11, 0x3f1, v8
	v_add_nc_u32_e32 v8, 0xfffffc10, v8
	v_cndmask_b32_e64 v2, 0, 1, vcc_lo
	v_cmp_ne_u32_e32 vcc_lo, 0, v6
	v_lshrrev_b32_e32 v7, 16, v7
	v_and_or_b32 v2, 0xffe, v4, v2
	v_cndmask_b32_e64 v6, 0, 1, vcc_lo
	v_sub_nc_u32_e32 v4, 0x3f1, v10
	v_add_nc_u32_e32 v10, 0xfffffc10, v10
	v_and_or_b32 v6, 0xffe, v9, v6
	v_med3_i32 v9, v11, 0, 13
	v_or_b32_e32 v11, 0x1000, v2
	v_med3_i32 v4, v4, 0, 13
	v_or_b32_e32 v18, 0x1000, v6
	v_lshrrev_b32_e32 v19, v9, v11
	v_lshrrev_b32_e32 v20, v4, v18
	v_lshlrev_b32_e32 v9, v9, v19
	v_lshlrev_b32_e32 v4, v4, v20
	v_cmp_ne_u32_e32 vcc_lo, v9, v11
	v_lshl_or_b32 v11, v8, 12, v2
	v_cndmask_b32_e64 v9, 0, 1, vcc_lo
	v_cmp_ne_u32_e32 vcc_lo, v4, v18
	v_lshl_or_b32 v18, v10, 12, v6
	v_or_b32_e32 v9, v19, v9
	v_cndmask_b32_e64 v4, 0, 1, vcc_lo
	v_cmp_gt_i32_e32 vcc_lo, 1, v8
	v_or_b32_e32 v4, v20, v4
	v_cndmask_b32_e32 v9, v11, v9, vcc_lo
	v_cmp_gt_i32_e32 vcc_lo, 1, v10
	v_and_b32_e32 v11, 7, v9
	v_cndmask_b32_e32 v4, v18, v4, vcc_lo
	v_cmp_ne_u32_e32 vcc_lo, 0, v2
	v_lshrrev_b32_e32 v9, 2, v9
	v_cmp_eq_u32_e64 s0, 3, v11
	v_and_b32_e32 v18, 7, v4
	v_cndmask_b32_e64 v2, 0, 1, vcc_lo
	v_cmp_ne_u32_e32 vcc_lo, 0, v6
	v_lshrrev_b32_e32 v4, 2, v4
	v_cmp_lt_i32_e64 s1, 5, v18
	v_cmp_eq_u32_e64 s2, 3, v18
	v_cndmask_b32_e64 v6, 0, 1, vcc_lo
	v_cmp_lt_i32_e32 vcc_lo, 5, v11
	v_lshl_or_b32 v2, v2, 9, 0x7c00
	v_lshl_or_b32 v6, v6, 9, 0x7c00
	s_or_b32 vcc_lo, s0, vcc_lo
	v_add_co_ci_u32_e32 v9, vcc_lo, 0, v9, vcc_lo
	s_or_b32 vcc_lo, s2, s1
	v_add_co_ci_u32_e32 v4, vcc_lo, 0, v4, vcc_lo
	v_cmp_gt_i32_e32 vcc_lo, 31, v8
	v_cndmask_b32_e32 v9, 0x7c00, v9, vcc_lo
	v_cmp_gt_i32_e32 vcc_lo, 31, v10
	v_cndmask_b32_e32 v4, 0x7c00, v4, vcc_lo
	v_cmp_eq_u32_e32 vcc_lo, 0x40f, v8
	v_cndmask_b32_e32 v2, v9, v2, vcc_lo
	v_cmp_eq_u32_e32 vcc_lo, 0x40f, v10
	v_and_or_b32 v2, 0x8000, v5, v2
	v_cndmask_b32_e32 v4, v4, v6, vcc_lo
	v_add_co_u32 v0, vcc_lo, v0, s6
	v_add_co_ci_u32_e32 v1, vcc_lo, s7, v1, vcc_lo
	v_and_or_b32 v4, 0x8000, v7, v4
	v_and_b32_e32 v2, 0xffff, v2
	v_lshl_or_b32 v2, v4, 16, v2
	v_lshrrev_b32_e32 v4, 16, v3
	global_store_dword v[0:1], v2, off
	global_load_dword v2, v[16:17], off offset:40
	s_waitcnt vmcnt(0)
	v_mul_f16_sdwa v5, v4, v2 dst_sel:DWORD dst_unused:UNUSED_PAD src0_sel:DWORD src1_sel:WORD_1
	v_mul_f16_sdwa v6, v3, v2 dst_sel:DWORD dst_unused:UNUSED_PAD src0_sel:DWORD src1_sel:WORD_1
	v_fmac_f16_e32 v5, v3, v2
	v_fma_f16 v2, v2, v4, -v6
	v_cvt_f32_f16_e32 v3, v5
	v_cvt_f32_f16_e32 v4, v2
	v_cvt_f64_f32_e32 v[2:3], v3
	v_cvt_f64_f32_e32 v[4:5], v4
	v_mul_f64 v[2:3], v[2:3], s[4:5]
	v_mul_f64 v[4:5], v[4:5], s[4:5]
	v_and_or_b32 v2, 0x1ff, v3, v2
	v_and_or_b32 v4, 0x1ff, v5, v4
	v_lshrrev_b32_e32 v6, 8, v3
	v_bfe_u32 v7, v3, 20, 11
	v_lshrrev_b32_e32 v8, 8, v5
	v_cmp_ne_u32_e32 vcc_lo, 0, v2
	v_bfe_u32 v9, v5, 20, 11
	v_lshrrev_b32_e32 v3, 16, v3
	v_sub_nc_u32_e32 v10, 0x3f1, v7
	v_add_nc_u32_e32 v7, 0xfffffc10, v7
	v_cndmask_b32_e64 v2, 0, 1, vcc_lo
	v_cmp_ne_u32_e32 vcc_lo, 0, v4
	v_lshrrev_b32_e32 v5, 16, v5
	v_and_or_b32 v2, 0xffe, v6, v2
	v_cndmask_b32_e64 v4, 0, 1, vcc_lo
	v_sub_nc_u32_e32 v6, 0x3f1, v9
	v_add_nc_u32_e32 v9, 0xfffffc10, v9
	v_and_or_b32 v4, 0xffe, v8, v4
	v_med3_i32 v8, v10, 0, 13
	v_or_b32_e32 v10, 0x1000, v2
	v_med3_i32 v6, v6, 0, 13
	v_or_b32_e32 v11, 0x1000, v4
	v_lshrrev_b32_e32 v18, v8, v10
	v_lshrrev_b32_e32 v19, v6, v11
	v_lshlrev_b32_e32 v8, v8, v18
	v_lshlrev_b32_e32 v6, v6, v19
	v_cmp_ne_u32_e32 vcc_lo, v8, v10
	v_lshl_or_b32 v10, v7, 12, v2
	v_cndmask_b32_e64 v8, 0, 1, vcc_lo
	v_cmp_ne_u32_e32 vcc_lo, v6, v11
	v_lshl_or_b32 v11, v9, 12, v4
	v_or_b32_e32 v8, v18, v8
	v_cndmask_b32_e64 v6, 0, 1, vcc_lo
	v_cmp_gt_i32_e32 vcc_lo, 1, v7
	v_or_b32_e32 v6, v19, v6
	v_cndmask_b32_e32 v8, v10, v8, vcc_lo
	v_cmp_gt_i32_e32 vcc_lo, 1, v9
	v_and_b32_e32 v10, 7, v8
	v_cndmask_b32_e32 v6, v11, v6, vcc_lo
	v_cmp_ne_u32_e32 vcc_lo, 0, v2
	v_lshrrev_b32_e32 v8, 2, v8
	v_cmp_eq_u32_e64 s0, 3, v10
	v_and_b32_e32 v11, 7, v6
	v_cndmask_b32_e64 v2, 0, 1, vcc_lo
	v_cmp_ne_u32_e32 vcc_lo, 0, v4
	v_lshrrev_b32_e32 v6, 2, v6
	v_cmp_lt_i32_e64 s1, 5, v11
	v_cmp_eq_u32_e64 s2, 3, v11
	v_cndmask_b32_e64 v4, 0, 1, vcc_lo
	v_cmp_lt_i32_e32 vcc_lo, 5, v10
	v_lshl_or_b32 v2, v2, 9, 0x7c00
	v_lshl_or_b32 v4, v4, 9, 0x7c00
	s_or_b32 vcc_lo, s0, vcc_lo
	v_add_co_ci_u32_e32 v8, vcc_lo, 0, v8, vcc_lo
	s_or_b32 vcc_lo, s2, s1
	v_add_co_ci_u32_e32 v6, vcc_lo, 0, v6, vcc_lo
	v_cmp_gt_i32_e32 vcc_lo, 31, v7
	v_cndmask_b32_e32 v8, 0x7c00, v8, vcc_lo
	v_cmp_gt_i32_e32 vcc_lo, 31, v9
	v_cndmask_b32_e32 v6, 0x7c00, v6, vcc_lo
	v_cmp_eq_u32_e32 vcc_lo, 0x40f, v7
	v_cndmask_b32_e32 v2, v8, v2, vcc_lo
	v_cmp_eq_u32_e32 vcc_lo, 0x40f, v9
	v_and_or_b32 v2, 0x8000, v3, v2
	v_cndmask_b32_e32 v4, v6, v4, vcc_lo
	v_add_co_u32 v0, vcc_lo, v0, s6
	v_add_co_ci_u32_e32 v1, vcc_lo, s7, v1, vcc_lo
	v_and_or_b32 v3, 0x8000, v5, v4
	v_and_b32_e32 v2, 0xffff, v2
	v_lshl_or_b32 v2, v3, 16, v2
	global_store_dword v[0:1], v2, off
	global_load_dword v4, v[16:17], off offset:580
	ds_read2_b32 v[2:3], v23 offset0:17 offset1:152
	s_waitcnt lgkmcnt(0)
	v_lshrrev_b32_e32 v5, 16, v2
	s_waitcnt vmcnt(0)
	v_mul_f16_sdwa v6, v5, v4 dst_sel:DWORD dst_unused:UNUSED_PAD src0_sel:DWORD src1_sel:WORD_1
	v_mul_f16_sdwa v7, v2, v4 dst_sel:DWORD dst_unused:UNUSED_PAD src0_sel:DWORD src1_sel:WORD_1
	v_fmac_f16_e32 v6, v2, v4
	v_fma_f16 v2, v4, v5, -v7
	v_cvt_f32_f16_e32 v4, v6
	v_cvt_f32_f16_e32 v2, v2
	v_cvt_f64_f32_e32 v[4:5], v4
	v_cvt_f64_f32_e32 v[6:7], v2
	v_mul_f64 v[4:5], v[4:5], s[4:5]
	v_mul_f64 v[6:7], v[6:7], s[4:5]
	v_and_or_b32 v2, 0x1ff, v5, v4
	v_and_or_b32 v6, 0x1ff, v7, v6
	v_lshrrev_b32_e32 v4, 8, v5
	v_bfe_u32 v8, v5, 20, 11
	v_lshrrev_b32_e32 v9, 8, v7
	v_cmp_ne_u32_e32 vcc_lo, 0, v2
	v_bfe_u32 v10, v7, 20, 11
	v_lshrrev_b32_e32 v5, 16, v5
	v_sub_nc_u32_e32 v11, 0x3f1, v8
	v_add_nc_u32_e32 v8, 0xfffffc10, v8
	v_cndmask_b32_e64 v2, 0, 1, vcc_lo
	v_cmp_ne_u32_e32 vcc_lo, 0, v6
	v_lshrrev_b32_e32 v7, 16, v7
	v_and_or_b32 v2, 0xffe, v4, v2
	v_cndmask_b32_e64 v6, 0, 1, vcc_lo
	v_sub_nc_u32_e32 v4, 0x3f1, v10
	v_add_nc_u32_e32 v10, 0xfffffc10, v10
	v_and_or_b32 v6, 0xffe, v9, v6
	v_med3_i32 v9, v11, 0, 13
	v_or_b32_e32 v11, 0x1000, v2
	v_med3_i32 v4, v4, 0, 13
	v_or_b32_e32 v18, 0x1000, v6
	v_lshrrev_b32_e32 v19, v9, v11
	v_lshrrev_b32_e32 v20, v4, v18
	v_lshlrev_b32_e32 v9, v9, v19
	v_lshlrev_b32_e32 v4, v4, v20
	v_cmp_ne_u32_e32 vcc_lo, v9, v11
	v_lshl_or_b32 v11, v8, 12, v2
	v_cndmask_b32_e64 v9, 0, 1, vcc_lo
	v_cmp_ne_u32_e32 vcc_lo, v4, v18
	v_lshl_or_b32 v18, v10, 12, v6
	v_or_b32_e32 v9, v19, v9
	v_cndmask_b32_e64 v4, 0, 1, vcc_lo
	v_cmp_gt_i32_e32 vcc_lo, 1, v8
	v_or_b32_e32 v4, v20, v4
	v_cndmask_b32_e32 v9, v11, v9, vcc_lo
	v_cmp_gt_i32_e32 vcc_lo, 1, v10
	v_and_b32_e32 v11, 7, v9
	v_cndmask_b32_e32 v4, v18, v4, vcc_lo
	v_cmp_ne_u32_e32 vcc_lo, 0, v2
	v_lshrrev_b32_e32 v9, 2, v9
	v_cmp_eq_u32_e64 s0, 3, v11
	v_and_b32_e32 v18, 7, v4
	v_cndmask_b32_e64 v2, 0, 1, vcc_lo
	v_cmp_ne_u32_e32 vcc_lo, 0, v6
	v_lshrrev_b32_e32 v4, 2, v4
	v_cmp_lt_i32_e64 s1, 5, v18
	v_cmp_eq_u32_e64 s2, 3, v18
	v_cndmask_b32_e64 v6, 0, 1, vcc_lo
	v_cmp_lt_i32_e32 vcc_lo, 5, v11
	v_lshl_or_b32 v2, v2, 9, 0x7c00
	v_lshl_or_b32 v6, v6, 9, 0x7c00
	s_or_b32 vcc_lo, s0, vcc_lo
	v_add_co_ci_u32_e32 v9, vcc_lo, 0, v9, vcc_lo
	s_or_b32 vcc_lo, s2, s1
	v_add_co_ci_u32_e32 v4, vcc_lo, 0, v4, vcc_lo
	v_cmp_gt_i32_e32 vcc_lo, 31, v8
	v_cndmask_b32_e32 v9, 0x7c00, v9, vcc_lo
	v_cmp_gt_i32_e32 vcc_lo, 31, v10
	v_cndmask_b32_e32 v4, 0x7c00, v4, vcc_lo
	v_cmp_eq_u32_e32 vcc_lo, 0x40f, v8
	v_cndmask_b32_e32 v2, v9, v2, vcc_lo
	v_cmp_eq_u32_e32 vcc_lo, 0x40f, v10
	v_and_or_b32 v2, 0x8000, v5, v2
	v_cndmask_b32_e32 v4, v4, v6, vcc_lo
	v_add_co_u32 v0, vcc_lo, v0, s6
	v_add_co_ci_u32_e32 v1, vcc_lo, s7, v1, vcc_lo
	v_and_or_b32 v4, 0x8000, v7, v4
	v_and_b32_e32 v2, 0xffff, v2
	v_lshl_or_b32 v2, v4, 16, v2
	v_lshrrev_b32_e32 v4, 16, v3
	global_store_dword v[0:1], v2, off
	global_load_dword v2, v[16:17], off offset:1120
	s_waitcnt vmcnt(0)
	v_mul_f16_sdwa v5, v4, v2 dst_sel:DWORD dst_unused:UNUSED_PAD src0_sel:DWORD src1_sel:WORD_1
	v_mul_f16_sdwa v6, v3, v2 dst_sel:DWORD dst_unused:UNUSED_PAD src0_sel:DWORD src1_sel:WORD_1
	v_fmac_f16_e32 v5, v3, v2
	v_fma_f16 v2, v2, v4, -v6
	v_cvt_f32_f16_e32 v3, v5
	v_cvt_f32_f16_e32 v4, v2
	v_cvt_f64_f32_e32 v[2:3], v3
	v_cvt_f64_f32_e32 v[4:5], v4
	v_mul_f64 v[2:3], v[2:3], s[4:5]
	v_mul_f64 v[4:5], v[4:5], s[4:5]
	v_and_or_b32 v2, 0x1ff, v3, v2
	v_and_or_b32 v4, 0x1ff, v5, v4
	v_lshrrev_b32_e32 v6, 8, v3
	v_bfe_u32 v7, v3, 20, 11
	v_lshrrev_b32_e32 v8, 8, v5
	v_cmp_ne_u32_e32 vcc_lo, 0, v2
	v_bfe_u32 v9, v5, 20, 11
	v_lshrrev_b32_e32 v3, 16, v3
	v_sub_nc_u32_e32 v10, 0x3f1, v7
	v_add_nc_u32_e32 v7, 0xfffffc10, v7
	v_cndmask_b32_e64 v2, 0, 1, vcc_lo
	v_cmp_ne_u32_e32 vcc_lo, 0, v4
	v_lshrrev_b32_e32 v5, 16, v5
	v_and_or_b32 v2, 0xffe, v6, v2
	v_cndmask_b32_e64 v4, 0, 1, vcc_lo
	v_sub_nc_u32_e32 v6, 0x3f1, v9
	v_add_nc_u32_e32 v9, 0xfffffc10, v9
	v_and_or_b32 v4, 0xffe, v8, v4
	v_med3_i32 v8, v10, 0, 13
	v_or_b32_e32 v10, 0x1000, v2
	v_med3_i32 v6, v6, 0, 13
	v_or_b32_e32 v11, 0x1000, v4
	v_lshrrev_b32_e32 v18, v8, v10
	v_lshrrev_b32_e32 v19, v6, v11
	v_lshlrev_b32_e32 v8, v8, v18
	v_lshlrev_b32_e32 v6, v6, v19
	v_cmp_ne_u32_e32 vcc_lo, v8, v10
	v_lshl_or_b32 v10, v7, 12, v2
	v_cndmask_b32_e64 v8, 0, 1, vcc_lo
	v_cmp_ne_u32_e32 vcc_lo, v6, v11
	v_lshl_or_b32 v11, v9, 12, v4
	v_or_b32_e32 v8, v18, v8
	v_cndmask_b32_e64 v6, 0, 1, vcc_lo
	v_cmp_gt_i32_e32 vcc_lo, 1, v7
	v_or_b32_e32 v6, v19, v6
	v_cndmask_b32_e32 v8, v10, v8, vcc_lo
	v_cmp_gt_i32_e32 vcc_lo, 1, v9
	v_and_b32_e32 v10, 7, v8
	v_cndmask_b32_e32 v6, v11, v6, vcc_lo
	v_cmp_ne_u32_e32 vcc_lo, 0, v2
	v_lshrrev_b32_e32 v8, 2, v8
	v_cmp_eq_u32_e64 s0, 3, v10
	v_and_b32_e32 v11, 7, v6
	v_cndmask_b32_e64 v2, 0, 1, vcc_lo
	v_cmp_ne_u32_e32 vcc_lo, 0, v4
	v_lshrrev_b32_e32 v6, 2, v6
	v_cmp_lt_i32_e64 s1, 5, v11
	v_cmp_eq_u32_e64 s2, 3, v11
	v_cndmask_b32_e64 v4, 0, 1, vcc_lo
	v_cmp_lt_i32_e32 vcc_lo, 5, v10
	v_lshl_or_b32 v2, v2, 9, 0x7c00
	v_lshl_or_b32 v4, v4, 9, 0x7c00
	s_or_b32 vcc_lo, s0, vcc_lo
	v_add_co_ci_u32_e32 v8, vcc_lo, 0, v8, vcc_lo
	s_or_b32 vcc_lo, s2, s1
	v_add_co_ci_u32_e32 v6, vcc_lo, 0, v6, vcc_lo
	v_cmp_gt_i32_e32 vcc_lo, 31, v7
	v_cndmask_b32_e32 v8, 0x7c00, v8, vcc_lo
	v_cmp_gt_i32_e32 vcc_lo, 31, v9
	v_cndmask_b32_e32 v6, 0x7c00, v6, vcc_lo
	v_cmp_eq_u32_e32 vcc_lo, 0x40f, v7
	v_cndmask_b32_e32 v2, v8, v2, vcc_lo
	v_cmp_eq_u32_e32 vcc_lo, 0x40f, v9
	v_and_or_b32 v2, 0x8000, v3, v2
	v_cndmask_b32_e32 v4, v6, v4, vcc_lo
	v_add_co_u32 v0, vcc_lo, v0, s6
	v_add_co_ci_u32_e32 v1, vcc_lo, s7, v1, vcc_lo
	v_and_or_b32 v3, 0x8000, v5, v4
	v_and_b32_e32 v2, 0xffff, v2
	v_lshl_or_b32 v2, v3, 16, v2
	global_store_dword v[0:1], v2, off
	global_load_dword v4, v[16:17], off offset:1660
	ds_read2_b32 v[2:3], v22 offset0:31 offset1:166
	s_waitcnt lgkmcnt(0)
	v_lshrrev_b32_e32 v5, 16, v2
	s_waitcnt vmcnt(0)
	v_mul_f16_sdwa v6, v5, v4 dst_sel:DWORD dst_unused:UNUSED_PAD src0_sel:DWORD src1_sel:WORD_1
	v_mul_f16_sdwa v7, v2, v4 dst_sel:DWORD dst_unused:UNUSED_PAD src0_sel:DWORD src1_sel:WORD_1
	v_fmac_f16_e32 v6, v2, v4
	v_fma_f16 v2, v4, v5, -v7
	v_cvt_f32_f16_e32 v4, v6
	v_cvt_f32_f16_e32 v2, v2
	v_cvt_f64_f32_e32 v[4:5], v4
	v_cvt_f64_f32_e32 v[6:7], v2
	v_mul_f64 v[4:5], v[4:5], s[4:5]
	v_mul_f64 v[6:7], v[6:7], s[4:5]
	v_and_or_b32 v2, 0x1ff, v5, v4
	v_and_or_b32 v6, 0x1ff, v7, v6
	v_lshrrev_b32_e32 v4, 8, v5
	v_bfe_u32 v8, v5, 20, 11
	v_lshrrev_b32_e32 v9, 8, v7
	v_cmp_ne_u32_e32 vcc_lo, 0, v2
	v_bfe_u32 v10, v7, 20, 11
	v_lshrrev_b32_e32 v5, 16, v5
	v_sub_nc_u32_e32 v11, 0x3f1, v8
	v_add_nc_u32_e32 v8, 0xfffffc10, v8
	v_cndmask_b32_e64 v2, 0, 1, vcc_lo
	v_cmp_ne_u32_e32 vcc_lo, 0, v6
	v_lshrrev_b32_e32 v7, 16, v7
	v_and_or_b32 v2, 0xffe, v4, v2
	v_cndmask_b32_e64 v6, 0, 1, vcc_lo
	v_sub_nc_u32_e32 v4, 0x3f1, v10
	v_add_nc_u32_e32 v10, 0xfffffc10, v10
	v_and_or_b32 v6, 0xffe, v9, v6
	v_med3_i32 v9, v11, 0, 13
	v_or_b32_e32 v11, 0x1000, v2
	v_med3_i32 v4, v4, 0, 13
	v_or_b32_e32 v16, 0x1000, v6
	v_lshrrev_b32_e32 v17, v9, v11
	v_lshrrev_b32_e32 v18, v4, v16
	v_lshlrev_b32_e32 v9, v9, v17
	v_lshlrev_b32_e32 v4, v4, v18
	v_cmp_ne_u32_e32 vcc_lo, v9, v11
	v_lshl_or_b32 v11, v8, 12, v2
	v_cndmask_b32_e64 v9, 0, 1, vcc_lo
	v_cmp_ne_u32_e32 vcc_lo, v4, v16
	v_lshl_or_b32 v16, v10, 12, v6
	v_or_b32_e32 v9, v17, v9
	v_cndmask_b32_e64 v4, 0, 1, vcc_lo
	v_cmp_gt_i32_e32 vcc_lo, 1, v8
	v_or_b32_e32 v4, v18, v4
	v_cndmask_b32_e32 v9, v11, v9, vcc_lo
	v_cmp_gt_i32_e32 vcc_lo, 1, v10
	v_and_b32_e32 v11, 7, v9
	v_cndmask_b32_e32 v4, v16, v4, vcc_lo
	v_cmp_ne_u32_e32 vcc_lo, 0, v2
	v_lshrrev_b32_e32 v9, 2, v9
	v_cmp_eq_u32_e64 s0, 3, v11
	v_and_b32_e32 v16, 7, v4
	v_cndmask_b32_e64 v2, 0, 1, vcc_lo
	v_cmp_ne_u32_e32 vcc_lo, 0, v6
	v_lshrrev_b32_e32 v4, 2, v4
	v_cmp_lt_i32_e64 s1, 5, v16
	v_cmp_eq_u32_e64 s2, 3, v16
	v_cndmask_b32_e64 v6, 0, 1, vcc_lo
	v_cmp_lt_i32_e32 vcc_lo, 5, v11
	v_lshl_or_b32 v2, v2, 9, 0x7c00
	v_lshl_or_b32 v6, v6, 9, 0x7c00
	s_or_b32 vcc_lo, s0, vcc_lo
	v_add_co_ci_u32_e32 v9, vcc_lo, 0, v9, vcc_lo
	s_or_b32 vcc_lo, s2, s1
	v_add_co_ci_u32_e32 v4, vcc_lo, 0, v4, vcc_lo
	v_cmp_gt_i32_e32 vcc_lo, 31, v8
	v_cndmask_b32_e32 v9, 0x7c00, v9, vcc_lo
	v_cmp_gt_i32_e32 vcc_lo, 31, v10
	v_cndmask_b32_e32 v4, 0x7c00, v4, vcc_lo
	v_cmp_eq_u32_e32 vcc_lo, 0x40f, v8
	v_cndmask_b32_e32 v2, v9, v2, vcc_lo
	v_cmp_eq_u32_e32 vcc_lo, 0x40f, v10
	v_and_or_b32 v2, 0x8000, v5, v2
	v_cndmask_b32_e32 v4, v4, v6, vcc_lo
	v_add_co_u32 v0, vcc_lo, v0, s6
	v_add_co_ci_u32_e32 v1, vcc_lo, s7, v1, vcc_lo
	v_and_or_b32 v4, 0x8000, v7, v4
	v_and_b32_e32 v2, 0xffff, v2
	v_lshl_or_b32 v2, v4, 16, v2
	v_lshrrev_b32_e32 v4, 16, v3
	global_store_dword v[0:1], v2, off
	global_load_dword v2, v[14:15], off offset:152
	s_waitcnt vmcnt(0)
	v_mul_f16_sdwa v5, v4, v2 dst_sel:DWORD dst_unused:UNUSED_PAD src0_sel:DWORD src1_sel:WORD_1
	v_mul_f16_sdwa v6, v3, v2 dst_sel:DWORD dst_unused:UNUSED_PAD src0_sel:DWORD src1_sel:WORD_1
	v_fmac_f16_e32 v5, v3, v2
	v_fma_f16 v2, v2, v4, -v6
	v_cvt_f32_f16_e32 v3, v5
	v_cvt_f32_f16_e32 v4, v2
	v_cvt_f64_f32_e32 v[2:3], v3
	v_cvt_f64_f32_e32 v[4:5], v4
	v_mul_f64 v[2:3], v[2:3], s[4:5]
	v_mul_f64 v[4:5], v[4:5], s[4:5]
	v_and_or_b32 v2, 0x1ff, v3, v2
	v_and_or_b32 v4, 0x1ff, v5, v4
	v_lshrrev_b32_e32 v6, 8, v3
	v_bfe_u32 v7, v3, 20, 11
	v_lshrrev_b32_e32 v8, 8, v5
	v_cmp_ne_u32_e32 vcc_lo, 0, v2
	v_bfe_u32 v9, v5, 20, 11
	v_lshrrev_b32_e32 v3, 16, v3
	v_sub_nc_u32_e32 v10, 0x3f1, v7
	v_add_nc_u32_e32 v7, 0xfffffc10, v7
	v_cndmask_b32_e64 v2, 0, 1, vcc_lo
	v_cmp_ne_u32_e32 vcc_lo, 0, v4
	v_lshrrev_b32_e32 v5, 16, v5
	v_and_or_b32 v2, 0xffe, v6, v2
	v_cndmask_b32_e64 v4, 0, 1, vcc_lo
	v_sub_nc_u32_e32 v6, 0x3f1, v9
	v_add_nc_u32_e32 v9, 0xfffffc10, v9
	v_and_or_b32 v4, 0xffe, v8, v4
	v_med3_i32 v8, v10, 0, 13
	v_or_b32_e32 v10, 0x1000, v2
	v_med3_i32 v6, v6, 0, 13
	v_or_b32_e32 v11, 0x1000, v4
	v_lshrrev_b32_e32 v16, v8, v10
	v_lshrrev_b32_e32 v17, v6, v11
	v_lshlrev_b32_e32 v8, v8, v16
	v_lshlrev_b32_e32 v6, v6, v17
	v_cmp_ne_u32_e32 vcc_lo, v8, v10
	v_lshl_or_b32 v10, v7, 12, v2
	v_cndmask_b32_e64 v8, 0, 1, vcc_lo
	v_cmp_ne_u32_e32 vcc_lo, v6, v11
	v_lshl_or_b32 v11, v9, 12, v4
	v_or_b32_e32 v8, v16, v8
	v_cndmask_b32_e64 v6, 0, 1, vcc_lo
	v_cmp_gt_i32_e32 vcc_lo, 1, v7
	v_or_b32_e32 v6, v17, v6
	v_cndmask_b32_e32 v8, v10, v8, vcc_lo
	v_cmp_gt_i32_e32 vcc_lo, 1, v9
	v_and_b32_e32 v10, 7, v8
	v_cndmask_b32_e32 v6, v11, v6, vcc_lo
	v_cmp_ne_u32_e32 vcc_lo, 0, v2
	v_lshrrev_b32_e32 v8, 2, v8
	v_cmp_eq_u32_e64 s0, 3, v10
	v_and_b32_e32 v11, 7, v6
	v_cndmask_b32_e64 v2, 0, 1, vcc_lo
	v_cmp_ne_u32_e32 vcc_lo, 0, v4
	v_lshrrev_b32_e32 v6, 2, v6
	v_cmp_lt_i32_e64 s1, 5, v11
	v_cmp_eq_u32_e64 s2, 3, v11
	v_cndmask_b32_e64 v4, 0, 1, vcc_lo
	v_cmp_lt_i32_e32 vcc_lo, 5, v10
	v_lshl_or_b32 v2, v2, 9, 0x7c00
	v_lshl_or_b32 v4, v4, 9, 0x7c00
	s_or_b32 vcc_lo, s0, vcc_lo
	v_add_co_ci_u32_e32 v8, vcc_lo, 0, v8, vcc_lo
	s_or_b32 vcc_lo, s2, s1
	v_add_co_ci_u32_e32 v6, vcc_lo, 0, v6, vcc_lo
	v_cmp_gt_i32_e32 vcc_lo, 31, v7
	v_cndmask_b32_e32 v8, 0x7c00, v8, vcc_lo
	v_cmp_gt_i32_e32 vcc_lo, 31, v9
	v_cndmask_b32_e32 v6, 0x7c00, v6, vcc_lo
	v_cmp_eq_u32_e32 vcc_lo, 0x40f, v7
	v_cndmask_b32_e32 v2, v8, v2, vcc_lo
	v_cmp_eq_u32_e32 vcc_lo, 0x40f, v9
	v_and_or_b32 v2, 0x8000, v3, v2
	v_cndmask_b32_e32 v4, v6, v4, vcc_lo
	v_add_co_u32 v0, vcc_lo, v0, s6
	v_add_co_ci_u32_e32 v1, vcc_lo, s7, v1, vcc_lo
	v_and_or_b32 v3, 0x8000, v5, v4
	v_and_b32_e32 v2, 0xffff, v2
	v_lshl_or_b32 v2, v3, 16, v2
	global_store_dword v[0:1], v2, off
	global_load_dword v4, v[14:15], off offset:692
	ds_read2_b32 v[2:3], v21 offset0:45 offset1:180
	s_waitcnt lgkmcnt(0)
	v_lshrrev_b32_e32 v5, 16, v2
	s_waitcnt vmcnt(0)
	v_mul_f16_sdwa v6, v5, v4 dst_sel:DWORD dst_unused:UNUSED_PAD src0_sel:DWORD src1_sel:WORD_1
	v_mul_f16_sdwa v7, v2, v4 dst_sel:DWORD dst_unused:UNUSED_PAD src0_sel:DWORD src1_sel:WORD_1
	v_fmac_f16_e32 v6, v2, v4
	v_fma_f16 v2, v4, v5, -v7
	v_cvt_f32_f16_e32 v4, v6
	v_cvt_f32_f16_e32 v2, v2
	v_cvt_f64_f32_e32 v[4:5], v4
	v_cvt_f64_f32_e32 v[6:7], v2
	v_mul_f64 v[4:5], v[4:5], s[4:5]
	v_mul_f64 v[6:7], v[6:7], s[4:5]
	v_and_or_b32 v2, 0x1ff, v5, v4
	v_and_or_b32 v6, 0x1ff, v7, v6
	v_lshrrev_b32_e32 v4, 8, v5
	v_bfe_u32 v8, v5, 20, 11
	v_lshrrev_b32_e32 v9, 8, v7
	v_cmp_ne_u32_e32 vcc_lo, 0, v2
	v_bfe_u32 v10, v7, 20, 11
	v_lshrrev_b32_e32 v5, 16, v5
	v_sub_nc_u32_e32 v11, 0x3f1, v8
	v_add_nc_u32_e32 v8, 0xfffffc10, v8
	v_cndmask_b32_e64 v2, 0, 1, vcc_lo
	v_cmp_ne_u32_e32 vcc_lo, 0, v6
	v_lshrrev_b32_e32 v7, 16, v7
	v_and_or_b32 v2, 0xffe, v4, v2
	v_cndmask_b32_e64 v6, 0, 1, vcc_lo
	v_sub_nc_u32_e32 v4, 0x3f1, v10
	v_add_nc_u32_e32 v10, 0xfffffc10, v10
	v_and_or_b32 v6, 0xffe, v9, v6
	v_med3_i32 v9, v11, 0, 13
	v_or_b32_e32 v11, 0x1000, v2
	v_med3_i32 v4, v4, 0, 13
	v_or_b32_e32 v16, 0x1000, v6
	v_lshrrev_b32_e32 v17, v9, v11
	v_lshrrev_b32_e32 v18, v4, v16
	v_lshlrev_b32_e32 v9, v9, v17
	v_lshlrev_b32_e32 v4, v4, v18
	v_cmp_ne_u32_e32 vcc_lo, v9, v11
	v_lshl_or_b32 v11, v8, 12, v2
	v_cndmask_b32_e64 v9, 0, 1, vcc_lo
	v_cmp_ne_u32_e32 vcc_lo, v4, v16
	v_lshl_or_b32 v16, v10, 12, v6
	v_or_b32_e32 v9, v17, v9
	v_cndmask_b32_e64 v4, 0, 1, vcc_lo
	v_cmp_gt_i32_e32 vcc_lo, 1, v8
	v_or_b32_e32 v4, v18, v4
	v_cndmask_b32_e32 v9, v11, v9, vcc_lo
	v_cmp_gt_i32_e32 vcc_lo, 1, v10
	v_and_b32_e32 v11, 7, v9
	v_cndmask_b32_e32 v4, v16, v4, vcc_lo
	v_cmp_ne_u32_e32 vcc_lo, 0, v2
	v_lshrrev_b32_e32 v9, 2, v9
	v_cmp_eq_u32_e64 s0, 3, v11
	v_and_b32_e32 v16, 7, v4
	v_cndmask_b32_e64 v2, 0, 1, vcc_lo
	v_cmp_ne_u32_e32 vcc_lo, 0, v6
	v_lshrrev_b32_e32 v4, 2, v4
	v_cmp_lt_i32_e64 s1, 5, v16
	v_cmp_eq_u32_e64 s2, 3, v16
	v_cndmask_b32_e64 v6, 0, 1, vcc_lo
	v_cmp_lt_i32_e32 vcc_lo, 5, v11
	v_lshl_or_b32 v2, v2, 9, 0x7c00
	v_lshl_or_b32 v6, v6, 9, 0x7c00
	s_or_b32 vcc_lo, s0, vcc_lo
	v_add_co_ci_u32_e32 v9, vcc_lo, 0, v9, vcc_lo
	s_or_b32 vcc_lo, s2, s1
	v_add_co_ci_u32_e32 v4, vcc_lo, 0, v4, vcc_lo
	v_cmp_gt_i32_e32 vcc_lo, 31, v8
	v_cndmask_b32_e32 v9, 0x7c00, v9, vcc_lo
	v_cmp_gt_i32_e32 vcc_lo, 31, v10
	v_cndmask_b32_e32 v4, 0x7c00, v4, vcc_lo
	v_cmp_eq_u32_e32 vcc_lo, 0x40f, v8
	v_cndmask_b32_e32 v2, v9, v2, vcc_lo
	v_cmp_eq_u32_e32 vcc_lo, 0x40f, v10
	v_and_or_b32 v2, 0x8000, v5, v2
	v_cndmask_b32_e32 v4, v4, v6, vcc_lo
	v_add_co_u32 v0, vcc_lo, v0, s6
	v_add_co_ci_u32_e32 v1, vcc_lo, s7, v1, vcc_lo
	v_and_or_b32 v4, 0x8000, v7, v4
	v_and_b32_e32 v2, 0xffff, v2
	v_lshl_or_b32 v2, v4, 16, v2
	v_lshrrev_b32_e32 v4, 16, v3
	global_store_dword v[0:1], v2, off
	global_load_dword v2, v[14:15], off offset:1232
	s_waitcnt vmcnt(0)
	v_mul_f16_sdwa v5, v4, v2 dst_sel:DWORD dst_unused:UNUSED_PAD src0_sel:DWORD src1_sel:WORD_1
	v_mul_f16_sdwa v6, v3, v2 dst_sel:DWORD dst_unused:UNUSED_PAD src0_sel:DWORD src1_sel:WORD_1
	v_fmac_f16_e32 v5, v3, v2
	v_fma_f16 v2, v2, v4, -v6
	v_cvt_f32_f16_e32 v3, v5
	v_cvt_f32_f16_e32 v4, v2
	v_cvt_f64_f32_e32 v[2:3], v3
	v_cvt_f64_f32_e32 v[4:5], v4
	v_mul_f64 v[2:3], v[2:3], s[4:5]
	v_mul_f64 v[4:5], v[4:5], s[4:5]
	v_and_or_b32 v2, 0x1ff, v3, v2
	v_and_or_b32 v4, 0x1ff, v5, v4
	v_lshrrev_b32_e32 v6, 8, v3
	v_bfe_u32 v7, v3, 20, 11
	v_lshrrev_b32_e32 v8, 8, v5
	v_cmp_ne_u32_e32 vcc_lo, 0, v2
	v_bfe_u32 v9, v5, 20, 11
	v_lshrrev_b32_e32 v3, 16, v3
	v_sub_nc_u32_e32 v10, 0x3f1, v7
	v_add_nc_u32_e32 v7, 0xfffffc10, v7
	v_cndmask_b32_e64 v2, 0, 1, vcc_lo
	v_cmp_ne_u32_e32 vcc_lo, 0, v4
	v_lshrrev_b32_e32 v5, 16, v5
	v_and_or_b32 v2, 0xffe, v6, v2
	v_cndmask_b32_e64 v4, 0, 1, vcc_lo
	v_sub_nc_u32_e32 v6, 0x3f1, v9
	v_add_nc_u32_e32 v9, 0xfffffc10, v9
	v_and_or_b32 v4, 0xffe, v8, v4
	v_med3_i32 v8, v10, 0, 13
	v_or_b32_e32 v10, 0x1000, v2
	v_med3_i32 v6, v6, 0, 13
	v_or_b32_e32 v11, 0x1000, v4
	v_lshrrev_b32_e32 v16, v8, v10
	v_lshrrev_b32_e32 v17, v6, v11
	v_lshlrev_b32_e32 v8, v8, v16
	v_lshlrev_b32_e32 v6, v6, v17
	v_cmp_ne_u32_e32 vcc_lo, v8, v10
	v_lshl_or_b32 v10, v7, 12, v2
	v_cndmask_b32_e64 v8, 0, 1, vcc_lo
	v_cmp_ne_u32_e32 vcc_lo, v6, v11
	v_lshl_or_b32 v11, v9, 12, v4
	v_or_b32_e32 v8, v16, v8
	v_cndmask_b32_e64 v6, 0, 1, vcc_lo
	v_cmp_gt_i32_e32 vcc_lo, 1, v7
	v_or_b32_e32 v6, v17, v6
	v_cndmask_b32_e32 v8, v10, v8, vcc_lo
	v_cmp_gt_i32_e32 vcc_lo, 1, v9
	v_and_b32_e32 v10, 7, v8
	v_cndmask_b32_e32 v6, v11, v6, vcc_lo
	v_cmp_ne_u32_e32 vcc_lo, 0, v2
	v_lshrrev_b32_e32 v8, 2, v8
	v_cmp_eq_u32_e64 s0, 3, v10
	v_and_b32_e32 v11, 7, v6
	v_cndmask_b32_e64 v2, 0, 1, vcc_lo
	v_cmp_ne_u32_e32 vcc_lo, 0, v4
	v_lshrrev_b32_e32 v6, 2, v6
	v_cmp_lt_i32_e64 s1, 5, v11
	v_cmp_eq_u32_e64 s2, 3, v11
	v_cndmask_b32_e64 v4, 0, 1, vcc_lo
	v_cmp_lt_i32_e32 vcc_lo, 5, v10
	v_lshl_or_b32 v2, v2, 9, 0x7c00
	v_lshl_or_b32 v4, v4, 9, 0x7c00
	s_or_b32 vcc_lo, s0, vcc_lo
	v_add_co_ci_u32_e32 v8, vcc_lo, 0, v8, vcc_lo
	s_or_b32 vcc_lo, s2, s1
	v_add_co_ci_u32_e32 v6, vcc_lo, 0, v6, vcc_lo
	v_cmp_gt_i32_e32 vcc_lo, 31, v7
	v_cndmask_b32_e32 v8, 0x7c00, v8, vcc_lo
	v_cmp_gt_i32_e32 vcc_lo, 31, v9
	v_cndmask_b32_e32 v6, 0x7c00, v6, vcc_lo
	v_cmp_eq_u32_e32 vcc_lo, 0x40f, v7
	v_cndmask_b32_e32 v2, v8, v2, vcc_lo
	v_cmp_eq_u32_e32 vcc_lo, 0x40f, v9
	v_and_or_b32 v2, 0x8000, v3, v2
	v_cndmask_b32_e32 v4, v6, v4, vcc_lo
	v_add_co_u32 v0, vcc_lo, v0, s6
	v_add_co_ci_u32_e32 v1, vcc_lo, s7, v1, vcc_lo
	v_and_or_b32 v3, 0x8000, v5, v4
	v_and_b32_e32 v2, 0xffff, v2
	v_lshl_or_b32 v2, v3, 16, v2
	global_store_dword v[0:1], v2, off
	global_load_dword v4, v[14:15], off offset:1772
	v_add_nc_u32_e32 v2, 0x1600, v73
	ds_read2_b32 v[2:3], v2 offset0:59 offset1:194
	s_waitcnt lgkmcnt(0)
	v_lshrrev_b32_e32 v5, 16, v2
	s_waitcnt vmcnt(0)
	v_mul_f16_sdwa v6, v5, v4 dst_sel:DWORD dst_unused:UNUSED_PAD src0_sel:DWORD src1_sel:WORD_1
	v_mul_f16_sdwa v7, v2, v4 dst_sel:DWORD dst_unused:UNUSED_PAD src0_sel:DWORD src1_sel:WORD_1
	v_fmac_f16_e32 v6, v2, v4
	v_fma_f16 v2, v4, v5, -v7
	v_cvt_f32_f16_e32 v4, v6
	v_cvt_f32_f16_e32 v2, v2
	v_cvt_f64_f32_e32 v[4:5], v4
	v_cvt_f64_f32_e32 v[6:7], v2
	v_mul_f64 v[4:5], v[4:5], s[4:5]
	v_mul_f64 v[6:7], v[6:7], s[4:5]
	v_and_or_b32 v2, 0x1ff, v5, v4
	v_and_or_b32 v6, 0x1ff, v7, v6
	v_lshrrev_b32_e32 v4, 8, v5
	v_bfe_u32 v8, v5, 20, 11
	v_lshrrev_b32_e32 v9, 8, v7
	v_cmp_ne_u32_e32 vcc_lo, 0, v2
	v_bfe_u32 v10, v7, 20, 11
	v_lshrrev_b32_e32 v5, 16, v5
	v_sub_nc_u32_e32 v11, 0x3f1, v8
	v_add_nc_u32_e32 v8, 0xfffffc10, v8
	v_cndmask_b32_e64 v2, 0, 1, vcc_lo
	v_cmp_ne_u32_e32 vcc_lo, 0, v6
	v_lshrrev_b32_e32 v7, 16, v7
	v_and_or_b32 v2, 0xffe, v4, v2
	v_cndmask_b32_e64 v6, 0, 1, vcc_lo
	v_sub_nc_u32_e32 v4, 0x3f1, v10
	v_add_nc_u32_e32 v10, 0xfffffc10, v10
	v_and_or_b32 v6, 0xffe, v9, v6
	v_med3_i32 v9, v11, 0, 13
	v_or_b32_e32 v11, 0x1000, v2
	v_med3_i32 v4, v4, 0, 13
	v_or_b32_e32 v14, 0x1000, v6
	v_lshrrev_b32_e32 v15, v9, v11
	v_lshrrev_b32_e32 v16, v4, v14
	v_lshlrev_b32_e32 v9, v9, v15
	v_lshlrev_b32_e32 v4, v4, v16
	v_cmp_ne_u32_e32 vcc_lo, v9, v11
	v_lshl_or_b32 v11, v8, 12, v2
	v_cndmask_b32_e64 v9, 0, 1, vcc_lo
	v_cmp_ne_u32_e32 vcc_lo, v4, v14
	v_lshl_or_b32 v14, v10, 12, v6
	v_or_b32_e32 v9, v15, v9
	v_cndmask_b32_e64 v4, 0, 1, vcc_lo
	v_cmp_gt_i32_e32 vcc_lo, 1, v8
	v_or_b32_e32 v4, v16, v4
	v_cndmask_b32_e32 v9, v11, v9, vcc_lo
	v_cmp_gt_i32_e32 vcc_lo, 1, v10
	v_and_b32_e32 v11, 7, v9
	v_cndmask_b32_e32 v4, v14, v4, vcc_lo
	v_cmp_ne_u32_e32 vcc_lo, 0, v2
	v_lshrrev_b32_e32 v9, 2, v9
	v_cmp_eq_u32_e64 s0, 3, v11
	v_and_b32_e32 v14, 7, v4
	v_cndmask_b32_e64 v2, 0, 1, vcc_lo
	v_cmp_ne_u32_e32 vcc_lo, 0, v6
	v_lshrrev_b32_e32 v4, 2, v4
	v_cmp_lt_i32_e64 s1, 5, v14
	v_cmp_eq_u32_e64 s2, 3, v14
	v_cndmask_b32_e64 v6, 0, 1, vcc_lo
	v_cmp_lt_i32_e32 vcc_lo, 5, v11
	v_lshl_or_b32 v2, v2, 9, 0x7c00
	v_lshl_or_b32 v6, v6, 9, 0x7c00
	s_or_b32 vcc_lo, s0, vcc_lo
	v_add_co_ci_u32_e32 v9, vcc_lo, 0, v9, vcc_lo
	s_or_b32 vcc_lo, s2, s1
	v_add_co_ci_u32_e32 v4, vcc_lo, 0, v4, vcc_lo
	v_cmp_gt_i32_e32 vcc_lo, 31, v8
	v_cndmask_b32_e32 v9, 0x7c00, v9, vcc_lo
	v_cmp_gt_i32_e32 vcc_lo, 31, v10
	v_cndmask_b32_e32 v4, 0x7c00, v4, vcc_lo
	v_cmp_eq_u32_e32 vcc_lo, 0x40f, v8
	v_cndmask_b32_e32 v2, v9, v2, vcc_lo
	v_cmp_eq_u32_e32 vcc_lo, 0x40f, v10
	v_and_or_b32 v2, 0x8000, v5, v2
	v_cndmask_b32_e32 v4, v4, v6, vcc_lo
	v_add_co_u32 v0, vcc_lo, v0, s6
	v_add_co_ci_u32_e32 v1, vcc_lo, s7, v1, vcc_lo
	v_and_or_b32 v4, 0x8000, v7, v4
	v_and_b32_e32 v2, 0xffff, v2
	v_lshl_or_b32 v2, v4, 16, v2
	v_lshrrev_b32_e32 v4, 16, v3
	global_store_dword v[0:1], v2, off
	global_load_dword v2, v[12:13], off offset:264
	s_waitcnt vmcnt(0)
	v_mul_f16_sdwa v5, v4, v2 dst_sel:DWORD dst_unused:UNUSED_PAD src0_sel:DWORD src1_sel:WORD_1
	v_mul_f16_sdwa v6, v3, v2 dst_sel:DWORD dst_unused:UNUSED_PAD src0_sel:DWORD src1_sel:WORD_1
	v_fmac_f16_e32 v5, v3, v2
	v_fma_f16 v2, v2, v4, -v6
	v_cvt_f32_f16_e32 v3, v5
	v_cvt_f32_f16_e32 v4, v2
	v_cvt_f64_f32_e32 v[2:3], v3
	v_cvt_f64_f32_e32 v[4:5], v4
	v_mul_f64 v[2:3], v[2:3], s[4:5]
	v_mul_f64 v[4:5], v[4:5], s[4:5]
	v_and_or_b32 v2, 0x1ff, v3, v2
	v_and_or_b32 v4, 0x1ff, v5, v4
	v_lshrrev_b32_e32 v6, 8, v3
	v_bfe_u32 v7, v3, 20, 11
	v_lshrrev_b32_e32 v8, 8, v5
	v_cmp_ne_u32_e32 vcc_lo, 0, v2
	v_bfe_u32 v9, v5, 20, 11
	v_lshrrev_b32_e32 v3, 16, v3
	v_sub_nc_u32_e32 v10, 0x3f1, v7
	v_add_nc_u32_e32 v7, 0xfffffc10, v7
	v_cndmask_b32_e64 v2, 0, 1, vcc_lo
	v_cmp_ne_u32_e32 vcc_lo, 0, v4
	v_lshrrev_b32_e32 v5, 16, v5
	v_and_or_b32 v2, 0xffe, v6, v2
	v_cndmask_b32_e64 v4, 0, 1, vcc_lo
	v_sub_nc_u32_e32 v6, 0x3f1, v9
	v_add_nc_u32_e32 v9, 0xfffffc10, v9
	v_and_or_b32 v4, 0xffe, v8, v4
	v_med3_i32 v8, v10, 0, 13
	v_or_b32_e32 v10, 0x1000, v2
	v_med3_i32 v6, v6, 0, 13
	v_or_b32_e32 v11, 0x1000, v4
	v_lshrrev_b32_e32 v14, v8, v10
	v_lshrrev_b32_e32 v15, v6, v11
	v_lshlrev_b32_e32 v8, v8, v14
	v_lshlrev_b32_e32 v6, v6, v15
	v_cmp_ne_u32_e32 vcc_lo, v8, v10
	v_lshl_or_b32 v10, v7, 12, v2
	v_cndmask_b32_e64 v8, 0, 1, vcc_lo
	v_cmp_ne_u32_e32 vcc_lo, v6, v11
	v_lshl_or_b32 v11, v9, 12, v4
	v_or_b32_e32 v8, v14, v8
	v_cndmask_b32_e64 v6, 0, 1, vcc_lo
	v_cmp_gt_i32_e32 vcc_lo, 1, v7
	v_or_b32_e32 v6, v15, v6
	v_cndmask_b32_e32 v8, v10, v8, vcc_lo
	v_cmp_gt_i32_e32 vcc_lo, 1, v9
	v_and_b32_e32 v10, 7, v8
	v_cndmask_b32_e32 v6, v11, v6, vcc_lo
	v_cmp_ne_u32_e32 vcc_lo, 0, v2
	v_lshrrev_b32_e32 v8, 2, v8
	v_cmp_eq_u32_e64 s0, 3, v10
	v_and_b32_e32 v11, 7, v6
	v_cndmask_b32_e64 v2, 0, 1, vcc_lo
	v_cmp_ne_u32_e32 vcc_lo, 0, v4
	v_lshrrev_b32_e32 v6, 2, v6
	v_cmp_lt_i32_e64 s1, 5, v11
	v_cmp_eq_u32_e64 s2, 3, v11
	v_cndmask_b32_e64 v4, 0, 1, vcc_lo
	v_cmp_lt_i32_e32 vcc_lo, 5, v10
	v_lshl_or_b32 v2, v2, 9, 0x7c00
	v_lshl_or_b32 v4, v4, 9, 0x7c00
	s_or_b32 vcc_lo, s0, vcc_lo
	v_add_co_ci_u32_e32 v8, vcc_lo, 0, v8, vcc_lo
	s_or_b32 vcc_lo, s2, s1
	v_add_co_ci_u32_e32 v6, vcc_lo, 0, v6, vcc_lo
	v_cmp_gt_i32_e32 vcc_lo, 31, v7
	v_cndmask_b32_e32 v8, 0x7c00, v8, vcc_lo
	v_cmp_gt_i32_e32 vcc_lo, 31, v9
	v_cndmask_b32_e32 v6, 0x7c00, v6, vcc_lo
	v_cmp_eq_u32_e32 vcc_lo, 0x40f, v7
	v_cndmask_b32_e32 v2, v8, v2, vcc_lo
	v_cmp_eq_u32_e32 vcc_lo, 0x40f, v9
	v_and_or_b32 v2, 0x8000, v3, v2
	v_cndmask_b32_e32 v4, v6, v4, vcc_lo
	v_add_co_u32 v0, vcc_lo, v0, s6
	v_add_co_ci_u32_e32 v1, vcc_lo, s7, v1, vcc_lo
	v_and_or_b32 v3, 0x8000, v5, v4
	v_and_b32_e32 v2, 0xffff, v2
	v_lshl_or_b32 v2, v3, 16, v2
	ds_read_b32 v3, v73 offset:6948
	global_store_dword v[0:1], v2, off
	global_load_dword v2, v[12:13], off offset:804
	s_waitcnt lgkmcnt(0)
	v_lshrrev_b32_e32 v4, 16, v3
	s_waitcnt vmcnt(0)
	v_mul_f16_sdwa v5, v4, v2 dst_sel:DWORD dst_unused:UNUSED_PAD src0_sel:DWORD src1_sel:WORD_1
	v_mul_f16_sdwa v6, v3, v2 dst_sel:DWORD dst_unused:UNUSED_PAD src0_sel:DWORD src1_sel:WORD_1
	v_fmac_f16_e32 v5, v3, v2
	v_fma_f16 v2, v2, v4, -v6
	v_cvt_f32_f16_e32 v3, v5
	v_cvt_f32_f16_e32 v4, v2
	v_cvt_f64_f32_e32 v[2:3], v3
	v_cvt_f64_f32_e32 v[4:5], v4
	v_mul_f64 v[2:3], v[2:3], s[4:5]
	v_mul_f64 v[4:5], v[4:5], s[4:5]
	v_and_or_b32 v2, 0x1ff, v3, v2
	v_and_or_b32 v4, 0x1ff, v5, v4
	v_lshrrev_b32_e32 v6, 8, v3
	v_bfe_u32 v7, v3, 20, 11
	v_lshrrev_b32_e32 v8, 8, v5
	v_cmp_ne_u32_e32 vcc_lo, 0, v2
	v_bfe_u32 v9, v5, 20, 11
	v_lshrrev_b32_e32 v3, 16, v3
	v_sub_nc_u32_e32 v10, 0x3f1, v7
	v_add_nc_u32_e32 v7, 0xfffffc10, v7
	v_cndmask_b32_e64 v2, 0, 1, vcc_lo
	v_cmp_ne_u32_e32 vcc_lo, 0, v4
	v_lshrrev_b32_e32 v5, 16, v5
	v_and_or_b32 v2, 0xffe, v6, v2
	v_cndmask_b32_e64 v4, 0, 1, vcc_lo
	v_sub_nc_u32_e32 v6, 0x3f1, v9
	v_add_nc_u32_e32 v9, 0xfffffc10, v9
	v_and_or_b32 v4, 0xffe, v8, v4
	v_med3_i32 v8, v10, 0, 13
	v_or_b32_e32 v10, 0x1000, v2
	v_med3_i32 v6, v6, 0, 13
	v_or_b32_e32 v11, 0x1000, v4
	v_lshrrev_b32_e32 v12, v8, v10
	v_lshrrev_b32_e32 v13, v6, v11
	v_lshlrev_b32_e32 v8, v8, v12
	v_lshlrev_b32_e32 v6, v6, v13
	v_cmp_ne_u32_e32 vcc_lo, v8, v10
	v_lshl_or_b32 v10, v7, 12, v2
	v_cndmask_b32_e64 v8, 0, 1, vcc_lo
	v_cmp_ne_u32_e32 vcc_lo, v6, v11
	v_lshl_or_b32 v11, v9, 12, v4
	v_or_b32_e32 v8, v12, v8
	v_cndmask_b32_e64 v6, 0, 1, vcc_lo
	v_cmp_gt_i32_e32 vcc_lo, 1, v7
	v_or_b32_e32 v6, v13, v6
	v_cndmask_b32_e32 v8, v10, v8, vcc_lo
	v_cmp_gt_i32_e32 vcc_lo, 1, v9
	v_and_b32_e32 v10, 7, v8
	v_cndmask_b32_e32 v6, v11, v6, vcc_lo
	v_cmp_ne_u32_e32 vcc_lo, 0, v2
	v_lshrrev_b32_e32 v8, 2, v8
	v_cmp_eq_u32_e64 s0, 3, v10
	v_and_b32_e32 v11, 7, v6
	v_cndmask_b32_e64 v2, 0, 1, vcc_lo
	v_cmp_ne_u32_e32 vcc_lo, 0, v4
	v_lshrrev_b32_e32 v6, 2, v6
	v_cmp_lt_i32_e64 s1, 5, v11
	v_cmp_eq_u32_e64 s2, 3, v11
	v_cndmask_b32_e64 v4, 0, 1, vcc_lo
	v_cmp_lt_i32_e32 vcc_lo, 5, v10
	v_lshl_or_b32 v2, v2, 9, 0x7c00
	v_lshl_or_b32 v4, v4, 9, 0x7c00
	s_or_b32 vcc_lo, s0, vcc_lo
	v_add_co_ci_u32_e32 v8, vcc_lo, 0, v8, vcc_lo
	s_or_b32 vcc_lo, s2, s1
	v_add_co_ci_u32_e32 v6, vcc_lo, 0, v6, vcc_lo
	v_cmp_gt_i32_e32 vcc_lo, 31, v7
	v_cndmask_b32_e32 v8, 0x7c00, v8, vcc_lo
	v_cmp_gt_i32_e32 vcc_lo, 31, v9
	v_cndmask_b32_e32 v6, 0x7c00, v6, vcc_lo
	v_cmp_eq_u32_e32 vcc_lo, 0x40f, v7
	v_cndmask_b32_e32 v2, v8, v2, vcc_lo
	v_cmp_eq_u32_e32 vcc_lo, 0x40f, v9
	v_and_or_b32 v2, 0x8000, v3, v2
	v_cndmask_b32_e32 v4, v6, v4, vcc_lo
	v_add_co_u32 v0, vcc_lo, v0, s6
	v_add_co_ci_u32_e32 v1, vcc_lo, s7, v1, vcc_lo
	v_and_or_b32 v3, 0x8000, v5, v4
	v_and_b32_e32 v2, 0xffff, v2
	v_lshl_or_b32 v2, v3, 16, v2
	global_store_dword v[0:1], v2, off
.LBB0_15:
	s_endpgm
	.section	.rodata,"a",@progbits
	.p2align	6, 0x0
	.amdhsa_kernel bluestein_single_back_len1755_dim1_half_op_CI_CI
		.amdhsa_group_segment_fixed_size 7020
		.amdhsa_private_segment_fixed_size 0
		.amdhsa_kernarg_size 104
		.amdhsa_user_sgpr_count 6
		.amdhsa_user_sgpr_private_segment_buffer 1
		.amdhsa_user_sgpr_dispatch_ptr 0
		.amdhsa_user_sgpr_queue_ptr 0
		.amdhsa_user_sgpr_kernarg_segment_ptr 1
		.amdhsa_user_sgpr_dispatch_id 0
		.amdhsa_user_sgpr_flat_scratch_init 0
		.amdhsa_user_sgpr_private_segment_size 0
		.amdhsa_wavefront_size32 1
		.amdhsa_uses_dynamic_stack 0
		.amdhsa_system_sgpr_private_segment_wavefront_offset 0
		.amdhsa_system_sgpr_workgroup_id_x 1
		.amdhsa_system_sgpr_workgroup_id_y 0
		.amdhsa_system_sgpr_workgroup_id_z 0
		.amdhsa_system_sgpr_workgroup_info 0
		.amdhsa_system_vgpr_workitem_id 0
		.amdhsa_next_free_vgpr 201
		.amdhsa_next_free_sgpr 16
		.amdhsa_reserve_vcc 1
		.amdhsa_reserve_flat_scratch 0
		.amdhsa_float_round_mode_32 0
		.amdhsa_float_round_mode_16_64 0
		.amdhsa_float_denorm_mode_32 3
		.amdhsa_float_denorm_mode_16_64 3
		.amdhsa_dx10_clamp 1
		.amdhsa_ieee_mode 1
		.amdhsa_fp16_overflow 0
		.amdhsa_workgroup_processor_mode 1
		.amdhsa_memory_ordered 1
		.amdhsa_forward_progress 0
		.amdhsa_shared_vgpr_count 0
		.amdhsa_exception_fp_ieee_invalid_op 0
		.amdhsa_exception_fp_denorm_src 0
		.amdhsa_exception_fp_ieee_div_zero 0
		.amdhsa_exception_fp_ieee_overflow 0
		.amdhsa_exception_fp_ieee_underflow 0
		.amdhsa_exception_fp_ieee_inexact 0
		.amdhsa_exception_int_div_zero 0
	.end_amdhsa_kernel
	.text
.Lfunc_end0:
	.size	bluestein_single_back_len1755_dim1_half_op_CI_CI, .Lfunc_end0-bluestein_single_back_len1755_dim1_half_op_CI_CI
                                        ; -- End function
	.section	.AMDGPU.csdata,"",@progbits
; Kernel info:
; codeLenInByte = 43384
; NumSgprs: 18
; NumVgprs: 201
; ScratchSize: 0
; MemoryBound: 0
; FloatMode: 240
; IeeeMode: 1
; LDSByteSize: 7020 bytes/workgroup (compile time only)
; SGPRBlocks: 2
; VGPRBlocks: 25
; NumSGPRsForWavesPerEU: 18
; NumVGPRsForWavesPerEU: 201
; Occupancy: 4
; WaveLimiterHint : 1
; COMPUTE_PGM_RSRC2:SCRATCH_EN: 0
; COMPUTE_PGM_RSRC2:USER_SGPR: 6
; COMPUTE_PGM_RSRC2:TRAP_HANDLER: 0
; COMPUTE_PGM_RSRC2:TGID_X_EN: 1
; COMPUTE_PGM_RSRC2:TGID_Y_EN: 0
; COMPUTE_PGM_RSRC2:TGID_Z_EN: 0
; COMPUTE_PGM_RSRC2:TIDIG_COMP_CNT: 0
	.text
	.p2alignl 6, 3214868480
	.fill 48, 4, 3214868480
	.type	__hip_cuid_f2a0adfc1f65d963,@object ; @__hip_cuid_f2a0adfc1f65d963
	.section	.bss,"aw",@nobits
	.globl	__hip_cuid_f2a0adfc1f65d963
__hip_cuid_f2a0adfc1f65d963:
	.byte	0                               ; 0x0
	.size	__hip_cuid_f2a0adfc1f65d963, 1

	.ident	"AMD clang version 19.0.0git (https://github.com/RadeonOpenCompute/llvm-project roc-6.4.0 25133 c7fe45cf4b819c5991fe208aaa96edf142730f1d)"
	.section	".note.GNU-stack","",@progbits
	.addrsig
	.addrsig_sym __hip_cuid_f2a0adfc1f65d963
	.amdgpu_metadata
---
amdhsa.kernels:
  - .args:
      - .actual_access:  read_only
        .address_space:  global
        .offset:         0
        .size:           8
        .value_kind:     global_buffer
      - .actual_access:  read_only
        .address_space:  global
        .offset:         8
        .size:           8
        .value_kind:     global_buffer
      - .actual_access:  read_only
        .address_space:  global
        .offset:         16
        .size:           8
        .value_kind:     global_buffer
      - .actual_access:  read_only
        .address_space:  global
        .offset:         24
        .size:           8
        .value_kind:     global_buffer
      - .actual_access:  read_only
        .address_space:  global
        .offset:         32
        .size:           8
        .value_kind:     global_buffer
      - .offset:         40
        .size:           8
        .value_kind:     by_value
      - .address_space:  global
        .offset:         48
        .size:           8
        .value_kind:     global_buffer
      - .address_space:  global
        .offset:         56
        .size:           8
        .value_kind:     global_buffer
      - .address_space:  global
        .offset:         64
        .size:           8
        .value_kind:     global_buffer
      - .address_space:  global
        .offset:         72
        .size:           8
        .value_kind:     global_buffer
      - .offset:         80
        .size:           4
        .value_kind:     by_value
      - .address_space:  global
        .offset:         88
        .size:           8
        .value_kind:     global_buffer
      - .address_space:  global
        .offset:         96
        .size:           8
        .value_kind:     global_buffer
    .group_segment_fixed_size: 7020
    .kernarg_segment_align: 8
    .kernarg_segment_size: 104
    .language:       OpenCL C
    .language_version:
      - 2
      - 0
    .max_flat_workgroup_size: 117
    .name:           bluestein_single_back_len1755_dim1_half_op_CI_CI
    .private_segment_fixed_size: 0
    .sgpr_count:     18
    .sgpr_spill_count: 0
    .symbol:         bluestein_single_back_len1755_dim1_half_op_CI_CI.kd
    .uniform_work_group_size: 1
    .uses_dynamic_stack: false
    .vgpr_count:     201
    .vgpr_spill_count: 0
    .wavefront_size: 32
    .workgroup_processor_mode: 1
amdhsa.target:   amdgcn-amd-amdhsa--gfx1030
amdhsa.version:
  - 1
  - 2
...

	.end_amdgpu_metadata
